;; amdgpu-corpus repo=ROCm/rccl kind=compiled arch=gfx942 opt=O3
	.text
	.amdgcn_target "amdgcn-amd-amdhsa--gfx942"
	.amdhsa_code_object_version 6
	.protected	_Z10PingKernelP10LLFifoLineS0_PmPj ; -- Begin function _Z10PingKernelP10LLFifoLineS0_PmPj
	.globl	_Z10PingKernelP10LLFifoLineS0_PmPj
	.p2align	8
	.type	_Z10PingKernelP10LLFifoLineS0_PmPj,@function
_Z10PingKernelP10LLFifoLineS0_PmPj:     ; @_Z10PingKernelP10LLFifoLineS0_PmPj
; %bb.0:
	s_load_dwordx8 s[0:7], s[0:1], 0x0
	v_mov_b32_e32 v15, 0
	v_lshlrev_b32_e32 v14, 4, v0
	s_movk_i32 s16, 0x20c5
	s_mov_b32 s17, 0xf4240
	s_waitcnt lgkmcnt(0)
	v_lshl_add_u64 v[10:11], s[2:3], 0, v[14:15]
	v_lshl_add_u64 v[12:13], s[0:1], 0, v[14:15]
	s_mov_b32 s2, 1
	s_mov_b32 s3, 0
.LBB0_1:                                ; =>This Loop Header: Depth=1
                                        ;     Child Loop BB0_2 Depth 2
                                        ;     Child Loop BB0_9 Depth 2
	;; [unrolled: 1-line block ×250, first 2 shown]
	v_lshrrev_b16_e64 v1, 3, s2
	v_mul_lo_u32 v1, v1, s16
	v_lshrrev_b32_e32 v1, 20, v1
	v_mul_lo_u16_e32 v1, 0x3e8, v1
	v_sub_u16_e32 v1, s2, v1
	v_lshlrev_b32_e32 v14, 12, v1
	v_lshl_add_u64 v[6:7], v[10:11], 0, v[14:15]
	v_mov_b32_e32 v2, s2
	v_mov_b32_e32 v3, s2
	;; [unrolled: 1-line block ×4, first 2 shown]
	global_store_dwordx4 v[6:7], v[2:5], off nt
	v_lshl_add_u64 v[6:7], v[12:13], 0, v[14:15]
	s_mov_b64 s[8:9], 0
	s_mov_b64 s[10:11], 0
	v_mov_b32_e32 v1, 0
.LBB0_2:                                ;   Parent Loop BB0_1 Depth=1
                                        ; =>  This Inner Loop Header: Depth=2
	global_load_dwordx4 v[2:5], v[6:7], off nt
	v_add_u32_e32 v1, 1, v1
	v_cmp_eq_u32_e32 vcc, s17, v1
	v_mov_b32_e32 v8, 0
	s_and_saveexec_b64 s[0:1], vcc
	s_cbranch_execz .LBB0_4
; %bb.3:                                ;   in Loop: Header=BB0_2 Depth=2
	s_waitcnt vmcnt(0)
	global_load_dword v8, v15, s[6:7] sc0 sc1
	s_waitcnt vmcnt(0)
	buffer_inv sc0 sc1
	v_mov_b32_e32 v1, 0
.LBB0_4:                                ;   in Loop: Header=BB0_2 Depth=2
	s_or_b64 exec, exec, s[0:1]
	v_cmp_eq_u32_e32 vcc, 0, v8
	s_mov_b64 s[0:1], -1
	s_and_saveexec_b64 s[12:13], vcc
	s_cbranch_execz .LBB0_6
; %bb.5:                                ;   in Loop: Header=BB0_2 Depth=2
	s_waitcnt vmcnt(0)
	v_cmp_eq_u32_e32 vcc, s2, v3
	v_cmp_eq_u32_e64 s[0:1], s2, v5
	s_and_b64 s[0:1], vcc, s[0:1]
	s_orn2_b64 s[0:1], s[0:1], exec
.LBB0_6:                                ;   in Loop: Header=BB0_2 Depth=2
	s_or_b64 exec, exec, s[12:13]
	s_and_b64 s[0:1], exec, s[0:1]
	s_or_b64 s[10:11], s[0:1], s[10:11]
	s_andn2_b64 exec, exec, s[10:11]
	s_cbranch_execnz .LBB0_2
; %bb.7:                                ;   in Loop: Header=BB0_2 Depth=2
	s_or_b64 exec, exec, s[10:11]
	s_waitcnt vmcnt(0)
	v_mov_b32_e32 v3, v4
	v_cmp_eq_u64_e32 vcc, s[2:3], v[2:3]
	v_mov_b32_e32 v1, 0
	s_or_b64 s[8:9], vcc, s[8:9]
	s_mov_b64 s[10:11], 0
	s_andn2_b64 exec, exec, s[8:9]
	s_cbranch_execnz .LBB0_2
; %bb.8:                                ;   in Loop: Header=BB0_1 Depth=1
	s_or_b64 exec, exec, s[8:9]
	s_add_i32 s8, s2, 1
	v_lshrrev_b16_e64 v1, 3, s8
	v_mul_lo_u32 v1, v1, s16
	v_lshrrev_b32_e32 v1, 20, v1
	v_mul_lo_u16_e32 v1, 0x3e8, v1
	v_sub_u16_e32 v1, s8, v1
	v_lshlrev_b32_e32 v14, 12, v1
	v_lshl_add_u64 v[6:7], v[10:11], 0, v[14:15]
	v_mov_b32_e32 v2, s8
	v_mov_b32_e32 v3, s8
	;; [unrolled: 1-line block ×4, first 2 shown]
	s_mov_b32 s9, s3
	global_store_dwordx4 v[6:7], v[2:5], off nt
	s_mov_b64 s[12:13], 0
	s_nop 0
	v_lshl_add_u64 v[2:3], v[12:13], 0, v[14:15]
.LBB0_9:                                ;   Parent Loop BB0_1 Depth=1
                                        ; =>  This Inner Loop Header: Depth=2
	global_load_dwordx4 v[6:9], v[2:3], off nt
	v_add_u32_e32 v4, 1, v4
	v_cmp_eq_u32_e32 vcc, s17, v4
	v_mov_b32_e32 v1, 0
	s_and_saveexec_b64 s[0:1], vcc
	s_cbranch_execz .LBB0_11
; %bb.10:                               ;   in Loop: Header=BB0_9 Depth=2
	s_waitcnt vmcnt(0)
	global_load_dword v1, v15, s[6:7] sc0 sc1
	s_waitcnt vmcnt(0)
	buffer_inv sc0 sc1
	v_mov_b32_e32 v4, 0
.LBB0_11:                               ;   in Loop: Header=BB0_9 Depth=2
	s_or_b64 exec, exec, s[0:1]
	v_cmp_eq_u32_e32 vcc, 0, v1
	s_mov_b64 s[0:1], -1
	s_and_saveexec_b64 s[14:15], vcc
	s_cbranch_execz .LBB0_13
; %bb.12:                               ;   in Loop: Header=BB0_9 Depth=2
	s_waitcnt vmcnt(0)
	v_cmp_eq_u32_e32 vcc, s8, v7
	v_cmp_eq_u32_e64 s[0:1], s8, v9
	s_and_b64 s[0:1], vcc, s[0:1]
	s_orn2_b64 s[0:1], s[0:1], exec
.LBB0_13:                               ;   in Loop: Header=BB0_9 Depth=2
	s_or_b64 exec, exec, s[14:15]
	s_and_b64 s[0:1], exec, s[0:1]
	s_or_b64 s[12:13], s[0:1], s[12:13]
	s_andn2_b64 exec, exec, s[12:13]
	s_cbranch_execnz .LBB0_9
; %bb.14:                               ;   in Loop: Header=BB0_9 Depth=2
	s_or_b64 exec, exec, s[12:13]
	s_waitcnt vmcnt(0)
	v_mov_b32_e32 v7, v8
	v_cmp_eq_u64_e32 vcc, s[8:9], v[6:7]
	s_or_b64 s[10:11], vcc, s[10:11]
	s_mov_b64 s[12:13], 0
	v_mov_b32_e32 v4, 0
	s_andn2_b64 exec, exec, s[10:11]
	s_cbranch_execnz .LBB0_9
; %bb.15:                               ;   in Loop: Header=BB0_1 Depth=1
	s_or_b64 exec, exec, s[10:11]
	s_add_i32 s8, s2, 2
	v_lshrrev_b16_e64 v1, 3, s8
	v_mul_lo_u32 v1, v1, s16
	v_lshrrev_b32_e32 v1, 20, v1
	v_mul_lo_u16_e32 v1, 0x3e8, v1
	v_sub_u16_e32 v1, s8, v1
	v_lshlrev_b32_e32 v14, 12, v1
	v_lshl_add_u64 v[6:7], v[10:11], 0, v[14:15]
	v_mov_b32_e32 v2, s8
	v_mov_b32_e32 v3, s8
	v_mov_b32_e32 v4, 0
	v_mov_b32_e32 v5, s8
	s_mov_b32 s9, s3
	global_store_dwordx4 v[6:7], v[2:5], off nt
	s_mov_b64 s[10:11], 0
	s_nop 0
	v_lshl_add_u64 v[2:3], v[12:13], 0, v[14:15]
.LBB0_16:                               ;   Parent Loop BB0_1 Depth=1
                                        ; =>  This Inner Loop Header: Depth=2
	global_load_dwordx4 v[6:9], v[2:3], off nt
	v_add_u32_e32 v4, 1, v4
	v_cmp_eq_u32_e32 vcc, s17, v4
	v_mov_b32_e32 v1, 0
	s_and_saveexec_b64 s[0:1], vcc
	s_cbranch_execz .LBB0_18
; %bb.17:                               ;   in Loop: Header=BB0_16 Depth=2
	s_waitcnt vmcnt(0)
	global_load_dword v1, v15, s[6:7] sc0 sc1
	s_waitcnt vmcnt(0)
	buffer_inv sc0 sc1
	v_mov_b32_e32 v4, 0
.LBB0_18:                               ;   in Loop: Header=BB0_16 Depth=2
	s_or_b64 exec, exec, s[0:1]
	v_cmp_eq_u32_e32 vcc, 0, v1
	s_mov_b64 s[0:1], -1
	s_and_saveexec_b64 s[14:15], vcc
	s_cbranch_execz .LBB0_20
; %bb.19:                               ;   in Loop: Header=BB0_16 Depth=2
	s_waitcnt vmcnt(0)
	v_cmp_eq_u32_e32 vcc, s8, v7
	v_cmp_eq_u32_e64 s[0:1], s8, v9
	s_and_b64 s[0:1], vcc, s[0:1]
	s_orn2_b64 s[0:1], s[0:1], exec
.LBB0_20:                               ;   in Loop: Header=BB0_16 Depth=2
	s_or_b64 exec, exec, s[14:15]
	s_and_b64 s[0:1], exec, s[0:1]
	s_or_b64 s[12:13], s[0:1], s[12:13]
	s_andn2_b64 exec, exec, s[12:13]
	s_cbranch_execnz .LBB0_16
; %bb.21:                               ;   in Loop: Header=BB0_16 Depth=2
	s_or_b64 exec, exec, s[12:13]
	s_waitcnt vmcnt(0)
	v_mov_b32_e32 v7, v8
	v_cmp_eq_u64_e32 vcc, s[8:9], v[6:7]
	s_or_b64 s[10:11], vcc, s[10:11]
	s_mov_b64 s[12:13], 0
	v_mov_b32_e32 v4, 0
	s_andn2_b64 exec, exec, s[10:11]
	s_cbranch_execnz .LBB0_16
; %bb.22:                               ;   in Loop: Header=BB0_1 Depth=1
	s_or_b64 exec, exec, s[10:11]
	s_add_i32 s8, s2, 3
	v_lshrrev_b16_e64 v1, 3, s8
	v_mul_lo_u32 v1, v1, s16
	v_lshrrev_b32_e32 v1, 20, v1
	v_mul_lo_u16_e32 v1, 0x3e8, v1
	v_sub_u16_e32 v1, s8, v1
	v_lshlrev_b32_e32 v14, 12, v1
	v_lshl_add_u64 v[6:7], v[10:11], 0, v[14:15]
	v_mov_b32_e32 v2, s8
	v_mov_b32_e32 v3, s8
	v_mov_b32_e32 v4, 0
	v_mov_b32_e32 v5, s8
	s_mov_b32 s9, s3
	global_store_dwordx4 v[6:7], v[2:5], off nt
	s_mov_b64 s[10:11], 0
	s_nop 0
	v_lshl_add_u64 v[2:3], v[12:13], 0, v[14:15]
.LBB0_23:                               ;   Parent Loop BB0_1 Depth=1
                                        ; =>  This Inner Loop Header: Depth=2
	global_load_dwordx4 v[6:9], v[2:3], off nt
	v_add_u32_e32 v4, 1, v4
	v_cmp_eq_u32_e32 vcc, s17, v4
	v_mov_b32_e32 v1, 0
	s_and_saveexec_b64 s[0:1], vcc
	s_cbranch_execz .LBB0_25
; %bb.24:                               ;   in Loop: Header=BB0_23 Depth=2
	s_waitcnt vmcnt(0)
	global_load_dword v1, v15, s[6:7] sc0 sc1
	s_waitcnt vmcnt(0)
	buffer_inv sc0 sc1
	v_mov_b32_e32 v4, 0
.LBB0_25:                               ;   in Loop: Header=BB0_23 Depth=2
	s_or_b64 exec, exec, s[0:1]
	v_cmp_eq_u32_e32 vcc, 0, v1
	s_mov_b64 s[0:1], -1
	s_and_saveexec_b64 s[14:15], vcc
	s_cbranch_execz .LBB0_27
; %bb.26:                               ;   in Loop: Header=BB0_23 Depth=2
	s_waitcnt vmcnt(0)
	v_cmp_eq_u32_e32 vcc, s8, v7
	v_cmp_eq_u32_e64 s[0:1], s8, v9
	s_and_b64 s[0:1], vcc, s[0:1]
	s_orn2_b64 s[0:1], s[0:1], exec
.LBB0_27:                               ;   in Loop: Header=BB0_23 Depth=2
	s_or_b64 exec, exec, s[14:15]
	s_and_b64 s[0:1], exec, s[0:1]
	s_or_b64 s[12:13], s[0:1], s[12:13]
	s_andn2_b64 exec, exec, s[12:13]
	s_cbranch_execnz .LBB0_23
; %bb.28:                               ;   in Loop: Header=BB0_23 Depth=2
	s_or_b64 exec, exec, s[12:13]
	s_waitcnt vmcnt(0)
	v_mov_b32_e32 v7, v8
	v_cmp_eq_u64_e32 vcc, s[8:9], v[6:7]
	s_or_b64 s[10:11], vcc, s[10:11]
	s_mov_b64 s[12:13], 0
	v_mov_b32_e32 v4, 0
	s_andn2_b64 exec, exec, s[10:11]
	s_cbranch_execnz .LBB0_23
	;; [unrolled: 61-line block ×12, first 2 shown]
; %bb.99:                               ;   in Loop: Header=BB0_1 Depth=1
	s_or_b64 exec, exec, s[10:11]
	s_add_i32 s8, s2, 14
	v_lshrrev_b16_e64 v1, 3, s8
	v_mul_lo_u32 v1, v1, s16
	v_lshrrev_b32_e32 v1, 20, v1
	v_mul_lo_u16_e32 v1, 0x3e8, v1
	v_sub_u16_e32 v1, s8, v1
	v_lshlrev_b32_e32 v14, 12, v1
	v_lshl_add_u64 v[6:7], v[10:11], 0, v[14:15]
	v_mov_b32_e32 v2, s8
	v_mov_b32_e32 v3, s8
	v_mov_b32_e32 v4, 0
	v_mov_b32_e32 v5, s8
	s_mov_b32 s9, s3
	global_store_dwordx4 v[6:7], v[2:5], off nt
	s_mov_b64 s[10:11], 0
	s_nop 0
	v_lshl_add_u64 v[2:3], v[12:13], 0, v[14:15]
.LBB0_100:                              ;   Parent Loop BB0_1 Depth=1
                                        ; =>  This Inner Loop Header: Depth=2
	global_load_dwordx4 v[6:9], v[2:3], off nt
	v_add_u32_e32 v4, 1, v4
	v_cmp_eq_u32_e32 vcc, s17, v4
	v_mov_b32_e32 v1, 0
	s_and_saveexec_b64 s[0:1], vcc
	s_cbranch_execz .LBB0_102
; %bb.101:                              ;   in Loop: Header=BB0_100 Depth=2
	s_waitcnt vmcnt(0)
	global_load_dword v1, v15, s[6:7] sc0 sc1
	s_waitcnt vmcnt(0)
	buffer_inv sc0 sc1
	v_mov_b32_e32 v4, 0
.LBB0_102:                              ;   in Loop: Header=BB0_100 Depth=2
	s_or_b64 exec, exec, s[0:1]
	v_cmp_eq_u32_e32 vcc, 0, v1
	s_mov_b64 s[0:1], -1
	s_and_saveexec_b64 s[14:15], vcc
	s_cbranch_execz .LBB0_104
; %bb.103:                              ;   in Loop: Header=BB0_100 Depth=2
	s_waitcnt vmcnt(0)
	v_cmp_eq_u32_e32 vcc, s8, v7
	v_cmp_eq_u32_e64 s[0:1], s8, v9
	s_and_b64 s[0:1], vcc, s[0:1]
	s_orn2_b64 s[0:1], s[0:1], exec
.LBB0_104:                              ;   in Loop: Header=BB0_100 Depth=2
	s_or_b64 exec, exec, s[14:15]
	s_and_b64 s[0:1], exec, s[0:1]
	s_or_b64 s[12:13], s[0:1], s[12:13]
	s_andn2_b64 exec, exec, s[12:13]
	s_cbranch_execnz .LBB0_100
; %bb.105:                              ;   in Loop: Header=BB0_100 Depth=2
	s_or_b64 exec, exec, s[12:13]
	s_waitcnt vmcnt(0)
	v_mov_b32_e32 v7, v8
	v_cmp_eq_u64_e32 vcc, s[8:9], v[6:7]
	s_or_b64 s[10:11], vcc, s[10:11]
	s_mov_b64 s[12:13], 0
	v_mov_b32_e32 v4, 0
	s_andn2_b64 exec, exec, s[10:11]
	s_cbranch_execnz .LBB0_100
; %bb.106:                              ;   in Loop: Header=BB0_1 Depth=1
	s_or_b64 exec, exec, s[10:11]
	s_add_i32 s8, s2, 15
	v_lshrrev_b16_e64 v1, 3, s8
	v_mul_lo_u32 v1, v1, s16
	v_lshrrev_b32_e32 v1, 20, v1
	v_mul_lo_u16_e32 v1, 0x3e8, v1
	v_sub_u16_e32 v1, s8, v1
	v_lshlrev_b32_e32 v14, 12, v1
	v_lshl_add_u64 v[6:7], v[10:11], 0, v[14:15]
	v_mov_b32_e32 v2, s8
	v_mov_b32_e32 v3, s8
	v_mov_b32_e32 v4, 0
	v_mov_b32_e32 v5, s8
	s_mov_b32 s9, s3
	global_store_dwordx4 v[6:7], v[2:5], off nt
	s_mov_b64 s[10:11], 0
	s_nop 0
	v_lshl_add_u64 v[2:3], v[12:13], 0, v[14:15]
.LBB0_107:                              ;   Parent Loop BB0_1 Depth=1
                                        ; =>  This Inner Loop Header: Depth=2
	global_load_dwordx4 v[6:9], v[2:3], off nt
	v_add_u32_e32 v4, 1, v4
	v_cmp_eq_u32_e32 vcc, s17, v4
	v_mov_b32_e32 v1, 0
	s_and_saveexec_b64 s[0:1], vcc
	s_cbranch_execz .LBB0_109
; %bb.108:                              ;   in Loop: Header=BB0_107 Depth=2
	s_waitcnt vmcnt(0)
	global_load_dword v1, v15, s[6:7] sc0 sc1
	s_waitcnt vmcnt(0)
	buffer_inv sc0 sc1
	v_mov_b32_e32 v4, 0
.LBB0_109:                              ;   in Loop: Header=BB0_107 Depth=2
	s_or_b64 exec, exec, s[0:1]
	v_cmp_eq_u32_e32 vcc, 0, v1
	s_mov_b64 s[0:1], -1
	s_and_saveexec_b64 s[14:15], vcc
	s_cbranch_execz .LBB0_111
; %bb.110:                              ;   in Loop: Header=BB0_107 Depth=2
	s_waitcnt vmcnt(0)
	v_cmp_eq_u32_e32 vcc, s8, v7
	v_cmp_eq_u32_e64 s[0:1], s8, v9
	s_and_b64 s[0:1], vcc, s[0:1]
	s_orn2_b64 s[0:1], s[0:1], exec
.LBB0_111:                              ;   in Loop: Header=BB0_107 Depth=2
	s_or_b64 exec, exec, s[14:15]
	s_and_b64 s[0:1], exec, s[0:1]
	s_or_b64 s[12:13], s[0:1], s[12:13]
	s_andn2_b64 exec, exec, s[12:13]
	s_cbranch_execnz .LBB0_107
; %bb.112:                              ;   in Loop: Header=BB0_107 Depth=2
	s_or_b64 exec, exec, s[12:13]
	s_waitcnt vmcnt(0)
	v_mov_b32_e32 v7, v8
	v_cmp_eq_u64_e32 vcc, s[8:9], v[6:7]
	s_or_b64 s[10:11], vcc, s[10:11]
	s_mov_b64 s[12:13], 0
	v_mov_b32_e32 v4, 0
	s_andn2_b64 exec, exec, s[10:11]
	s_cbranch_execnz .LBB0_107
; %bb.113:                              ;   in Loop: Header=BB0_1 Depth=1
	;; [unrolled: 61-line block ×128, first 2 shown]
	s_or_b64 exec, exec, s[10:11]
	s_add_i32 s8, s2, 0x8e
	v_lshrrev_b16_e64 v1, 3, s8
	v_mul_lo_u32 v1, v1, s16
	v_lshrrev_b32_e32 v1, 20, v1
	v_mul_lo_u16_e32 v1, 0x3e8, v1
	v_sub_u16_e32 v1, s8, v1
	v_lshlrev_b32_e32 v14, 12, v1
	v_lshl_add_u64 v[6:7], v[10:11], 0, v[14:15]
	v_mov_b32_e32 v2, s8
	v_mov_b32_e32 v3, s8
	;; [unrolled: 1-line block ×4, first 2 shown]
	s_mov_b32 s9, s3
	global_store_dwordx4 v[6:7], v[2:5], off nt
	s_mov_b64 s[10:11], 0
	s_nop 0
	v_lshl_add_u64 v[2:3], v[12:13], 0, v[14:15]
.LBB0_996:                              ;   Parent Loop BB0_1 Depth=1
                                        ; =>  This Inner Loop Header: Depth=2
	global_load_dwordx4 v[6:9], v[2:3], off nt
	v_add_u32_e32 v4, 1, v4
	v_cmp_eq_u32_e32 vcc, s17, v4
	v_mov_b32_e32 v1, 0
	s_and_saveexec_b64 s[0:1], vcc
	s_cbranch_execz .LBB0_998
; %bb.997:                              ;   in Loop: Header=BB0_996 Depth=2
	s_waitcnt vmcnt(0)
	global_load_dword v1, v15, s[6:7] sc0 sc1
	s_waitcnt vmcnt(0)
	buffer_inv sc0 sc1
	v_mov_b32_e32 v4, 0
.LBB0_998:                              ;   in Loop: Header=BB0_996 Depth=2
	s_or_b64 exec, exec, s[0:1]
	v_cmp_eq_u32_e32 vcc, 0, v1
	s_mov_b64 s[0:1], -1
	s_and_saveexec_b64 s[14:15], vcc
	s_cbranch_execz .LBB0_1000
; %bb.999:                              ;   in Loop: Header=BB0_996 Depth=2
	s_waitcnt vmcnt(0)
	v_cmp_eq_u32_e32 vcc, s8, v7
	v_cmp_eq_u32_e64 s[0:1], s8, v9
	s_and_b64 s[0:1], vcc, s[0:1]
	s_orn2_b64 s[0:1], s[0:1], exec
.LBB0_1000:                             ;   in Loop: Header=BB0_996 Depth=2
	s_or_b64 exec, exec, s[14:15]
	s_and_b64 s[0:1], exec, s[0:1]
	s_or_b64 s[12:13], s[0:1], s[12:13]
	s_andn2_b64 exec, exec, s[12:13]
	s_cbranch_execnz .LBB0_996
; %bb.1001:                             ;   in Loop: Header=BB0_996 Depth=2
	s_or_b64 exec, exec, s[12:13]
	s_waitcnt vmcnt(0)
	v_mov_b32_e32 v7, v8
	v_cmp_eq_u64_e32 vcc, s[8:9], v[6:7]
	s_or_b64 s[10:11], vcc, s[10:11]
	s_mov_b64 s[12:13], 0
	v_mov_b32_e32 v4, 0
	s_andn2_b64 exec, exec, s[10:11]
	s_cbranch_execnz .LBB0_996
; %bb.1002:                             ;   in Loop: Header=BB0_1 Depth=1
	s_or_b64 exec, exec, s[10:11]
	s_add_i32 s8, s2, 0x8f
	v_lshrrev_b16_e64 v1, 3, s8
	v_mul_lo_u32 v1, v1, s16
	v_lshrrev_b32_e32 v1, 20, v1
	v_mul_lo_u16_e32 v1, 0x3e8, v1
	v_sub_u16_e32 v1, s8, v1
	v_lshlrev_b32_e32 v14, 12, v1
	v_lshl_add_u64 v[6:7], v[10:11], 0, v[14:15]
	v_mov_b32_e32 v2, s8
	v_mov_b32_e32 v3, s8
	v_mov_b32_e32 v4, 0
	v_mov_b32_e32 v5, s8
	s_mov_b32 s9, s3
	global_store_dwordx4 v[6:7], v[2:5], off nt
	s_mov_b64 s[10:11], 0
	s_nop 0
	v_lshl_add_u64 v[2:3], v[12:13], 0, v[14:15]
.LBB0_1003:                             ;   Parent Loop BB0_1 Depth=1
                                        ; =>  This Inner Loop Header: Depth=2
	global_load_dwordx4 v[6:9], v[2:3], off nt
	v_add_u32_e32 v4, 1, v4
	v_cmp_eq_u32_e32 vcc, s17, v4
	v_mov_b32_e32 v1, 0
	s_and_saveexec_b64 s[0:1], vcc
	s_cbranch_execz .LBB0_1005
; %bb.1004:                             ;   in Loop: Header=BB0_1003 Depth=2
	s_waitcnt vmcnt(0)
	global_load_dword v1, v15, s[6:7] sc0 sc1
	s_waitcnt vmcnt(0)
	buffer_inv sc0 sc1
	v_mov_b32_e32 v4, 0
.LBB0_1005:                             ;   in Loop: Header=BB0_1003 Depth=2
	s_or_b64 exec, exec, s[0:1]
	v_cmp_eq_u32_e32 vcc, 0, v1
	s_mov_b64 s[0:1], -1
	s_and_saveexec_b64 s[14:15], vcc
	s_cbranch_execz .LBB0_1007
; %bb.1006:                             ;   in Loop: Header=BB0_1003 Depth=2
	s_waitcnt vmcnt(0)
	v_cmp_eq_u32_e32 vcc, s8, v7
	v_cmp_eq_u32_e64 s[0:1], s8, v9
	s_and_b64 s[0:1], vcc, s[0:1]
	s_orn2_b64 s[0:1], s[0:1], exec
.LBB0_1007:                             ;   in Loop: Header=BB0_1003 Depth=2
	s_or_b64 exec, exec, s[14:15]
	s_and_b64 s[0:1], exec, s[0:1]
	s_or_b64 s[12:13], s[0:1], s[12:13]
	s_andn2_b64 exec, exec, s[12:13]
	s_cbranch_execnz .LBB0_1003
; %bb.1008:                             ;   in Loop: Header=BB0_1003 Depth=2
	s_or_b64 exec, exec, s[12:13]
	s_waitcnt vmcnt(0)
	v_mov_b32_e32 v7, v8
	v_cmp_eq_u64_e32 vcc, s[8:9], v[6:7]
	s_or_b64 s[10:11], vcc, s[10:11]
	s_mov_b64 s[12:13], 0
	v_mov_b32_e32 v4, 0
	s_andn2_b64 exec, exec, s[10:11]
	s_cbranch_execnz .LBB0_1003
; %bb.1009:                             ;   in Loop: Header=BB0_1 Depth=1
	s_or_b64 exec, exec, s[10:11]
	s_add_i32 s8, s2, 0x90
	v_lshrrev_b16_e64 v1, 3, s8
	v_mul_lo_u32 v1, v1, s16
	v_lshrrev_b32_e32 v1, 20, v1
	v_mul_lo_u16_e32 v1, 0x3e8, v1
	v_sub_u16_e32 v1, s8, v1
	v_lshlrev_b32_e32 v14, 12, v1
	v_lshl_add_u64 v[6:7], v[10:11], 0, v[14:15]
	v_mov_b32_e32 v2, s8
	v_mov_b32_e32 v3, s8
	v_mov_b32_e32 v4, 0
	v_mov_b32_e32 v5, s8
	s_mov_b32 s9, s3
	global_store_dwordx4 v[6:7], v[2:5], off nt
	s_mov_b64 s[10:11], 0
	s_nop 0
	v_lshl_add_u64 v[2:3], v[12:13], 0, v[14:15]
.LBB0_1010:                             ;   Parent Loop BB0_1 Depth=1
                                        ; =>  This Inner Loop Header: Depth=2
	global_load_dwordx4 v[6:9], v[2:3], off nt
	v_add_u32_e32 v4, 1, v4
	v_cmp_eq_u32_e32 vcc, s17, v4
	v_mov_b32_e32 v1, 0
	s_and_saveexec_b64 s[0:1], vcc
	s_cbranch_execz .LBB0_1012
; %bb.1011:                             ;   in Loop: Header=BB0_1010 Depth=2
	s_waitcnt vmcnt(0)
	global_load_dword v1, v15, s[6:7] sc0 sc1
	s_waitcnt vmcnt(0)
	buffer_inv sc0 sc1
	v_mov_b32_e32 v4, 0
.LBB0_1012:                             ;   in Loop: Header=BB0_1010 Depth=2
	s_or_b64 exec, exec, s[0:1]
	v_cmp_eq_u32_e32 vcc, 0, v1
	s_mov_b64 s[0:1], -1
	s_and_saveexec_b64 s[14:15], vcc
	s_cbranch_execz .LBB0_1014
; %bb.1013:                             ;   in Loop: Header=BB0_1010 Depth=2
	s_waitcnt vmcnt(0)
	v_cmp_eq_u32_e32 vcc, s8, v7
	v_cmp_eq_u32_e64 s[0:1], s8, v9
	s_and_b64 s[0:1], vcc, s[0:1]
	s_orn2_b64 s[0:1], s[0:1], exec
.LBB0_1014:                             ;   in Loop: Header=BB0_1010 Depth=2
	s_or_b64 exec, exec, s[14:15]
	s_and_b64 s[0:1], exec, s[0:1]
	s_or_b64 s[12:13], s[0:1], s[12:13]
	s_andn2_b64 exec, exec, s[12:13]
	s_cbranch_execnz .LBB0_1010
; %bb.1015:                             ;   in Loop: Header=BB0_1010 Depth=2
	s_or_b64 exec, exec, s[12:13]
	s_waitcnt vmcnt(0)
	v_mov_b32_e32 v7, v8
	v_cmp_eq_u64_e32 vcc, s[8:9], v[6:7]
	s_or_b64 s[10:11], vcc, s[10:11]
	s_mov_b64 s[12:13], 0
	v_mov_b32_e32 v4, 0
	s_andn2_b64 exec, exec, s[10:11]
	s_cbranch_execnz .LBB0_1010
	;; [unrolled: 61-line block ×107, first 2 shown]
; %bb.1751:                             ;   in Loop: Header=BB0_1 Depth=1
	s_or_b64 exec, exec, s[10:11]
	s_addk_i32 s2, 0xfa
	s_cmpk_eq_i32 s2, 0x7d1
	s_cbranch_scc0 .LBB0_1
; %bb.1752:
	s_mov_b32 s11, 0
	v_cmp_eq_u32_e32 vcc, 0, v0
                                        ; implicit-def: $sgpr8_sgpr9
	s_and_saveexec_b64 s[0:1], vcc
	s_cbranch_execz .LBB0_1754
; %bb.1753:
	s_memrealtime s[8:9]
.LBB0_1754:
	s_or_b64 exec, exec, s[0:1]
	s_movk_i32 s10, 0x7d1
	s_movk_i32 s20, 0x20c5
	s_mov_b32 s21, 0xf4240
	v_mov_b32_e32 v9, 0
.LBB0_1755:                             ; =>This Loop Header: Depth=1
                                        ;     Child Loop BB0_1756 Depth 2
                                        ;     Child Loop BB0_1763 Depth 2
	;; [unrolled: 1-line block ×250, first 2 shown]
	v_lshrrev_b16_e64 v0, 3, s10
	v_mul_lo_u32 v0, v0, s20
	v_lshrrev_b32_e32 v0, 20, v0
	v_mul_lo_u16_e32 v0, 0x3e8, v0
	v_sub_u16_e32 v0, s10, v0
	v_lshlrev_b32_e32 v8, 12, v0
	v_lshl_add_u64 v[4:5], v[10:11], 0, v[8:9]
	v_mov_b32_e32 v0, s10
	v_mov_b32_e32 v1, s10
	;; [unrolled: 1-line block ×4, first 2 shown]
	global_store_dwordx4 v[4:5], v[0:3], off nt
	v_lshl_add_u64 v[4:5], v[12:13], 0, v[8:9]
	s_mov_b64 s[12:13], 0
	s_mov_b64 s[14:15], 0
	v_mov_b32_e32 v6, 0
.LBB0_1756:                             ;   Parent Loop BB0_1755 Depth=1
                                        ; =>  This Inner Loop Header: Depth=2
	global_load_dwordx4 v[0:3], v[4:5], off nt
	v_add_u32_e32 v6, 1, v6
	v_cmp_eq_u32_e64 s[0:1], s21, v6
	v_mov_b32_e32 v7, 0
	s_and_saveexec_b64 s[2:3], s[0:1]
	s_cbranch_execz .LBB0_1758
; %bb.1757:                             ;   in Loop: Header=BB0_1756 Depth=2
	s_waitcnt vmcnt(0) lgkmcnt(0)
	global_load_dword v7, v9, s[6:7] sc0 sc1
	s_waitcnt vmcnt(0)
	buffer_inv sc0 sc1
	v_mov_b32_e32 v6, 0
.LBB0_1758:                             ;   in Loop: Header=BB0_1756 Depth=2
	s_or_b64 exec, exec, s[2:3]
	v_cmp_eq_u32_e64 s[0:1], 0, v7
	s_mov_b64 s[2:3], -1
	s_and_saveexec_b64 s[16:17], s[0:1]
	s_cbranch_execz .LBB0_1760
; %bb.1759:                             ;   in Loop: Header=BB0_1756 Depth=2
	s_waitcnt vmcnt(0)
	v_cmp_eq_u32_e64 s[0:1], s10, v1
	v_cmp_eq_u32_e64 s[2:3], s10, v3
	s_and_b64 s[0:1], s[0:1], s[2:3]
	s_orn2_b64 s[2:3], s[0:1], exec
.LBB0_1760:                             ;   in Loop: Header=BB0_1756 Depth=2
	s_or_b64 exec, exec, s[16:17]
	s_and_b64 s[0:1], exec, s[2:3]
	s_or_b64 s[14:15], s[0:1], s[14:15]
	s_andn2_b64 exec, exec, s[14:15]
	s_cbranch_execnz .LBB0_1756
; %bb.1761:                             ;   in Loop: Header=BB0_1756 Depth=2
	s_or_b64 exec, exec, s[14:15]
	s_waitcnt vmcnt(0)
	v_mov_b32_e32 v1, v2
	v_cmp_eq_u64_e64 s[0:1], s[10:11], v[0:1]
	v_mov_b32_e32 v6, 0
	s_or_b64 s[12:13], s[0:1], s[12:13]
	s_mov_b64 s[14:15], 0
	s_andn2_b64 exec, exec, s[12:13]
	s_cbranch_execnz .LBB0_1756
; %bb.1762:                             ;   in Loop: Header=BB0_1755 Depth=1
	s_or_b64 exec, exec, s[12:13]
	s_add_i32 s12, s10, 1
	v_lshrrev_b16_e64 v0, 3, s12
	v_mul_lo_u32 v0, v0, s20
	v_lshrrev_b32_e32 v0, 20, v0
	v_mul_lo_u16_e32 v0, 0x3e8, v0
	v_sub_u16_e32 v0, s12, v0
	v_lshlrev_b32_e32 v8, 12, v0
	v_lshl_add_u64 v[4:5], v[10:11], 0, v[8:9]
	v_mov_b32_e32 v0, s12
	v_mov_b32_e32 v1, s12
	v_mov_b32_e32 v2, 0
	v_mov_b32_e32 v3, s12
	s_mov_b32 s13, s11
	global_store_dwordx4 v[4:5], v[0:3], off nt
	s_mov_b64 s[16:17], 0
	s_nop 0
	v_lshl_add_u64 v[0:1], v[12:13], 0, v[8:9]
.LBB0_1763:                             ;   Parent Loop BB0_1755 Depth=1
                                        ; =>  This Inner Loop Header: Depth=2
	global_load_dwordx4 v[4:7], v[0:1], off nt
	v_add_u32_e32 v2, 1, v2
	v_cmp_eq_u32_e64 s[0:1], s21, v2
	v_mov_b32_e32 v3, 0
	s_and_saveexec_b64 s[2:3], s[0:1]
	s_cbranch_execz .LBB0_1765
; %bb.1764:                             ;   in Loop: Header=BB0_1763 Depth=2
	s_waitcnt vmcnt(0) lgkmcnt(0)
	global_load_dword v3, v9, s[6:7] sc0 sc1
	s_waitcnt vmcnt(0)
	buffer_inv sc0 sc1
	v_mov_b32_e32 v2, 0
.LBB0_1765:                             ;   in Loop: Header=BB0_1763 Depth=2
	s_or_b64 exec, exec, s[2:3]
	v_cmp_eq_u32_e64 s[0:1], 0, v3
	s_mov_b64 s[2:3], -1
	s_and_saveexec_b64 s[18:19], s[0:1]
	s_cbranch_execz .LBB0_1767
; %bb.1766:                             ;   in Loop: Header=BB0_1763 Depth=2
	s_waitcnt vmcnt(0)
	v_cmp_eq_u32_e64 s[0:1], s12, v5
	v_cmp_eq_u32_e64 s[2:3], s12, v7
	s_and_b64 s[0:1], s[0:1], s[2:3]
	s_orn2_b64 s[2:3], s[0:1], exec
.LBB0_1767:                             ;   in Loop: Header=BB0_1763 Depth=2
	s_or_b64 exec, exec, s[18:19]
	s_and_b64 s[0:1], exec, s[2:3]
	s_or_b64 s[16:17], s[0:1], s[16:17]
	s_andn2_b64 exec, exec, s[16:17]
	s_cbranch_execnz .LBB0_1763
; %bb.1768:                             ;   in Loop: Header=BB0_1763 Depth=2
	s_or_b64 exec, exec, s[16:17]
	s_waitcnt vmcnt(0)
	v_mov_b32_e32 v5, v6
	v_cmp_eq_u64_e64 s[0:1], s[12:13], v[4:5]
	s_or_b64 s[14:15], s[0:1], s[14:15]
	s_mov_b64 s[16:17], 0
	v_mov_b32_e32 v2, 0
	s_andn2_b64 exec, exec, s[14:15]
	s_cbranch_execnz .LBB0_1763
; %bb.1769:                             ;   in Loop: Header=BB0_1755 Depth=1
	s_or_b64 exec, exec, s[14:15]
	s_add_i32 s12, s10, 2
	v_lshrrev_b16_e64 v0, 3, s12
	v_mul_lo_u32 v0, v0, s20
	v_lshrrev_b32_e32 v0, 20, v0
	v_mul_lo_u16_e32 v0, 0x3e8, v0
	v_sub_u16_e32 v0, s12, v0
	v_lshlrev_b32_e32 v8, 12, v0
	v_lshl_add_u64 v[4:5], v[10:11], 0, v[8:9]
	v_mov_b32_e32 v0, s12
	v_mov_b32_e32 v1, s12
	v_mov_b32_e32 v2, 0
	v_mov_b32_e32 v3, s12
	s_mov_b32 s13, s11
	global_store_dwordx4 v[4:5], v[0:3], off nt
	s_mov_b64 s[14:15], 0
	s_nop 0
	v_lshl_add_u64 v[0:1], v[12:13], 0, v[8:9]
.LBB0_1770:                             ;   Parent Loop BB0_1755 Depth=1
                                        ; =>  This Inner Loop Header: Depth=2
	global_load_dwordx4 v[4:7], v[0:1], off nt
	v_add_u32_e32 v2, 1, v2
	v_cmp_eq_u32_e64 s[0:1], s21, v2
	v_mov_b32_e32 v3, 0
	s_and_saveexec_b64 s[2:3], s[0:1]
	s_cbranch_execz .LBB0_1772
; %bb.1771:                             ;   in Loop: Header=BB0_1770 Depth=2
	s_waitcnt vmcnt(0) lgkmcnt(0)
	global_load_dword v3, v9, s[6:7] sc0 sc1
	s_waitcnt vmcnt(0)
	buffer_inv sc0 sc1
	v_mov_b32_e32 v2, 0
.LBB0_1772:                             ;   in Loop: Header=BB0_1770 Depth=2
	s_or_b64 exec, exec, s[2:3]
	v_cmp_eq_u32_e64 s[0:1], 0, v3
	s_mov_b64 s[2:3], -1
	s_and_saveexec_b64 s[18:19], s[0:1]
	s_cbranch_execz .LBB0_1774
; %bb.1773:                             ;   in Loop: Header=BB0_1770 Depth=2
	s_waitcnt vmcnt(0)
	v_cmp_eq_u32_e64 s[0:1], s12, v5
	v_cmp_eq_u32_e64 s[2:3], s12, v7
	s_and_b64 s[0:1], s[0:1], s[2:3]
	s_orn2_b64 s[2:3], s[0:1], exec
.LBB0_1774:                             ;   in Loop: Header=BB0_1770 Depth=2
	s_or_b64 exec, exec, s[18:19]
	s_and_b64 s[0:1], exec, s[2:3]
	s_or_b64 s[16:17], s[0:1], s[16:17]
	s_andn2_b64 exec, exec, s[16:17]
	s_cbranch_execnz .LBB0_1770
; %bb.1775:                             ;   in Loop: Header=BB0_1770 Depth=2
	s_or_b64 exec, exec, s[16:17]
	s_waitcnt vmcnt(0)
	v_mov_b32_e32 v5, v6
	v_cmp_eq_u64_e64 s[0:1], s[12:13], v[4:5]
	s_or_b64 s[14:15], s[0:1], s[14:15]
	s_mov_b64 s[16:17], 0
	v_mov_b32_e32 v2, 0
	s_andn2_b64 exec, exec, s[14:15]
	s_cbranch_execnz .LBB0_1770
	;; [unrolled: 61-line block ×249, first 2 shown]
; %bb.3505:                             ;   in Loop: Header=BB0_1755 Depth=1
	s_or_b64 exec, exec, s[14:15]
	s_addk_i32 s10, 0xfa
	s_cmpk_eq_i32 s10, 0x2ee1
	s_cbranch_scc0 .LBB0_1755
; %bb.3506:
	s_waitcnt lgkmcnt(0)
	s_barrier
	s_waitcnt lgkmcnt(0)
                                        ; implicit-def: $sgpr0_sgpr1
	s_and_saveexec_b64 s[2:3], vcc
	s_cbranch_execnz .LBB0_3509
; %bb.3507:
	s_or_b64 exec, exec, s[2:3]
	s_and_saveexec_b64 s[2:3], vcc
	s_cbranch_execnz .LBB0_3510
.LBB0_3508:
	s_endpgm
.LBB0_3509:
	s_memrealtime s[0:1]
	s_or_b64 exec, exec, s[2:3]
	s_and_saveexec_b64 s[2:3], vcc
	s_cbranch_execz .LBB0_3508
.LBB0_3510:
	s_waitcnt lgkmcnt(0)
	s_sub_u32 s0, s0, s8
	s_subb_u32 s1, s1, s9
	v_mov_b32_e32 v2, 0
	v_mov_b64_e32 v[0:1], s[0:1]
	global_store_dwordx2 v2, v[0:1], s[4:5]
	s_endpgm
	.section	.rodata,"a",@progbits
	.p2align	6, 0x0
	.amdhsa_kernel _Z10PingKernelP10LLFifoLineS0_PmPj
		.amdhsa_group_segment_fixed_size 0
		.amdhsa_private_segment_fixed_size 0
		.amdhsa_kernarg_size 32
		.amdhsa_user_sgpr_count 2
		.amdhsa_user_sgpr_dispatch_ptr 0
		.amdhsa_user_sgpr_queue_ptr 0
		.amdhsa_user_sgpr_kernarg_segment_ptr 1
		.amdhsa_user_sgpr_dispatch_id 0
		.amdhsa_user_sgpr_kernarg_preload_length 0
		.amdhsa_user_sgpr_kernarg_preload_offset 0
		.amdhsa_user_sgpr_private_segment_size 0
		.amdhsa_uses_dynamic_stack 0
		.amdhsa_enable_private_segment 0
		.amdhsa_system_sgpr_workgroup_id_x 1
		.amdhsa_system_sgpr_workgroup_id_y 0
		.amdhsa_system_sgpr_workgroup_id_z 0
		.amdhsa_system_sgpr_workgroup_info 0
		.amdhsa_system_vgpr_workitem_id 0
		.amdhsa_next_free_vgpr 16
		.amdhsa_next_free_sgpr 22
		.amdhsa_accum_offset 16
		.amdhsa_reserve_vcc 1
		.amdhsa_float_round_mode_32 0
		.amdhsa_float_round_mode_16_64 0
		.amdhsa_float_denorm_mode_32 3
		.amdhsa_float_denorm_mode_16_64 3
		.amdhsa_dx10_clamp 1
		.amdhsa_ieee_mode 1
		.amdhsa_fp16_overflow 0
		.amdhsa_tg_split 0
		.amdhsa_exception_fp_ieee_invalid_op 0
		.amdhsa_exception_fp_denorm_src 0
		.amdhsa_exception_fp_ieee_div_zero 0
		.amdhsa_exception_fp_ieee_overflow 0
		.amdhsa_exception_fp_ieee_underflow 0
		.amdhsa_exception_fp_ieee_inexact 0
		.amdhsa_exception_int_div_zero 0
	.end_amdhsa_kernel
	.text
.Lfunc_end0:
	.size	_Z10PingKernelP10LLFifoLineS0_PmPj, .Lfunc_end0-_Z10PingKernelP10LLFifoLineS0_PmPj
                                        ; -- End function
	.section	.AMDGPU.csdata,"",@progbits
; Kernel info:
; codeLenInByte = 131688
; NumSgprs: 28
; NumVgprs: 16
; NumAgprs: 0
; TotalNumVgprs: 16
; ScratchSize: 0
; MemoryBound: 0
; FloatMode: 240
; IeeeMode: 1
; LDSByteSize: 0 bytes/workgroup (compile time only)
; SGPRBlocks: 3
; VGPRBlocks: 1
; NumSGPRsForWavesPerEU: 28
; NumVGPRsForWavesPerEU: 16
; AccumOffset: 16
; Occupancy: 8
; WaveLimiterHint : 0
; COMPUTE_PGM_RSRC2:SCRATCH_EN: 0
; COMPUTE_PGM_RSRC2:USER_SGPR: 2
; COMPUTE_PGM_RSRC2:TRAP_HANDLER: 0
; COMPUTE_PGM_RSRC2:TGID_X_EN: 1
; COMPUTE_PGM_RSRC2:TGID_Y_EN: 0
; COMPUTE_PGM_RSRC2:TGID_Z_EN: 0
; COMPUTE_PGM_RSRC2:TIDIG_COMP_CNT: 0
; COMPUTE_PGM_RSRC3_GFX90A:ACCUM_OFFSET: 3
; COMPUTE_PGM_RSRC3_GFX90A:TG_SPLIT: 0
	.text
	.protected	_Z10PongKernelP10LLFifoLineS0_PmPj ; -- Begin function _Z10PongKernelP10LLFifoLineS0_PmPj
	.globl	_Z10PongKernelP10LLFifoLineS0_PmPj
	.p2align	8
	.type	_Z10PongKernelP10LLFifoLineS0_PmPj,@function
_Z10PongKernelP10LLFifoLineS0_PmPj:     ; @_Z10PongKernelP10LLFifoLineS0_PmPj
; %bb.0:
	s_load_dwordx8 s[0:7], s[0:1], 0x0
	v_mov_b32_e32 v4, 0
	v_lshlrev_b32_e32 v2, 4, v0
	v_mov_b32_e32 v3, v4
	s_mov_b32 s9, 0
	s_waitcnt lgkmcnt(0)
	v_lshl_add_u64 v[14:15], s[0:1], 0, v[2:3]
	v_lshl_add_u64 v[16:17], s[2:3], 0, v[2:3]
	s_mov_b32 s2, 1
	s_mov_b32 s18, 0xf4240
.LBB1_1:                                ; =>This Loop Header: Depth=1
                                        ;     Child Loop BB1_2 Depth 2
                                        ;     Child Loop BB1_9 Depth 2
	;; [unrolled: 1-line block ×250, first 2 shown]
	s_mul_hi_u32 s0, s2, 0x10624dd3
	s_lshr_b32 s0, s0, 6
	s_mulk_i32 s0, 0x3e8
	s_sub_i32 s0, s2, s0
	s_lshl_b32 s8, s0, 8
	s_lshl_b32 s0, s0, 12
	s_mov_b32 s1, s9
	v_lshl_add_u64 v[2:3], v[14:15], 0, s[0:1]
	s_mov_b32 s3, s9
	s_mov_b64 s[10:11], 0
	s_mov_b64 s[12:13], 0
	v_mov_b32_e32 v1, 0
.LBB1_2:                                ;   Parent Loop BB1_1 Depth=1
                                        ; =>  This Inner Loop Header: Depth=2
	global_load_dwordx4 v[6:9], v[2:3], off nt
	v_add_u32_e32 v1, 1, v1
	v_cmp_eq_u32_e32 vcc, s18, v1
	v_mov_b32_e32 v5, 0
	s_and_saveexec_b64 s[0:1], vcc
	s_cbranch_execz .LBB1_4
; %bb.3:                                ;   in Loop: Header=BB1_2 Depth=2
	s_waitcnt vmcnt(0)
	global_load_dword v5, v4, s[6:7] sc0 sc1
	s_waitcnt vmcnt(0)
	buffer_inv sc0 sc1
	v_mov_b32_e32 v1, 0
.LBB1_4:                                ;   in Loop: Header=BB1_2 Depth=2
	s_or_b64 exec, exec, s[0:1]
	v_cmp_eq_u32_e32 vcc, 0, v5
	s_mov_b64 s[0:1], -1
	s_and_saveexec_b64 s[14:15], vcc
	s_cbranch_execz .LBB1_6
; %bb.5:                                ;   in Loop: Header=BB1_2 Depth=2
	s_waitcnt vmcnt(0)
	v_cmp_eq_u32_e32 vcc, s2, v7
	v_cmp_eq_u32_e64 s[0:1], s2, v9
	s_and_b64 s[0:1], vcc, s[0:1]
	s_orn2_b64 s[0:1], s[0:1], exec
.LBB1_6:                                ;   in Loop: Header=BB1_2 Depth=2
	s_or_b64 exec, exec, s[14:15]
	s_and_b64 s[0:1], exec, s[0:1]
	s_or_b64 s[12:13], s[0:1], s[12:13]
	s_andn2_b64 exec, exec, s[12:13]
	s_cbranch_execnz .LBB1_2
; %bb.7:                                ;   in Loop: Header=BB1_2 Depth=2
	s_or_b64 exec, exec, s[12:13]
	s_waitcnt vmcnt(0)
	v_mov_b32_e32 v7, v8
	v_cmp_eq_u64_e32 vcc, s[2:3], v[6:7]
	v_mov_b32_e32 v1, 0
	s_or_b64 s[10:11], vcc, s[10:11]
	s_mov_b64 s[12:13], 0
	s_andn2_b64 exec, exec, s[10:11]
	s_cbranch_execnz .LBB1_2
; %bb.8:                                ;   in Loop: Header=BB1_1 Depth=1
	s_or_b64 exec, exec, s[10:11]
	s_mov_b32 s0, s9
	s_mov_b32 s1, s2
	s_or_b64 s[0:1], s[0:1], s[2:3]
	s_add_i32 s10, s2, 1
	v_mov_b32_e32 v6, s0
	s_mul_hi_u32 s0, s10, 0x10624dd3
	s_lshr_b32 s0, s0, 6
	s_mulk_i32 s0, 0x3e8
	s_sub_i32 s0, s10, s0
	v_lshl_add_u64 v[2:3], s[8:9], 4, v[16:17]
	v_mov_b32_e32 v7, s1
	v_mov_b32_e32 v8, 0
	;; [unrolled: 1-line block ×3, first 2 shown]
	s_lshl_b32 s8, s0, 8
	s_lshl_b32 s0, s0, 12
	s_mov_b32 s1, s9
	global_store_dwordx4 v[2:3], v[6:9], off nt
	v_lshl_add_u64 v[2:3], v[14:15], 0, s[0:1]
	s_mov_b32 s11, s9
	s_mov_b64 s[14:15], 0
.LBB1_9:                                ;   Parent Loop BB1_1 Depth=1
                                        ; =>  This Inner Loop Header: Depth=2
	global_load_dwordx4 v[10:13], v[2:3], off nt
	v_add_u32_e32 v8, 1, v8
	v_cmp_eq_u32_e32 vcc, s18, v8
	v_mov_b32_e32 v1, 0
	s_and_saveexec_b64 s[0:1], vcc
	s_cbranch_execz .LBB1_11
; %bb.10:                               ;   in Loop: Header=BB1_9 Depth=2
	s_waitcnt vmcnt(0)
	global_load_dword v1, v4, s[6:7] sc0 sc1
	s_waitcnt vmcnt(0)
	buffer_inv sc0 sc1
	v_mov_b32_e32 v8, 0
.LBB1_11:                               ;   in Loop: Header=BB1_9 Depth=2
	s_or_b64 exec, exec, s[0:1]
	v_cmp_eq_u32_e32 vcc, 0, v1
	s_mov_b64 s[0:1], -1
	s_and_saveexec_b64 s[16:17], vcc
	s_cbranch_execz .LBB1_13
; %bb.12:                               ;   in Loop: Header=BB1_9 Depth=2
	s_waitcnt vmcnt(0)
	v_cmp_eq_u32_e32 vcc, s10, v11
	v_cmp_eq_u32_e64 s[0:1], s10, v13
	s_and_b64 s[0:1], vcc, s[0:1]
	s_orn2_b64 s[0:1], s[0:1], exec
.LBB1_13:                               ;   in Loop: Header=BB1_9 Depth=2
	s_or_b64 exec, exec, s[16:17]
	s_and_b64 s[0:1], exec, s[0:1]
	s_or_b64 s[14:15], s[0:1], s[14:15]
	s_andn2_b64 exec, exec, s[14:15]
	s_cbranch_execnz .LBB1_9
; %bb.14:                               ;   in Loop: Header=BB1_9 Depth=2
	s_or_b64 exec, exec, s[14:15]
	s_waitcnt vmcnt(0)
	v_mov_b32_e32 v11, v12
	v_cmp_eq_u64_e32 vcc, s[10:11], v[10:11]
	s_or_b64 s[12:13], vcc, s[12:13]
	s_mov_b64 s[14:15], 0
	v_mov_b32_e32 v8, 0
	s_andn2_b64 exec, exec, s[12:13]
	s_cbranch_execnz .LBB1_9
; %bb.15:                               ;   in Loop: Header=BB1_1 Depth=1
	s_or_b64 exec, exec, s[12:13]
	s_mov_b32 s0, s9
	s_mov_b32 s1, s10
	s_or_b64 s[0:1], s[0:1], s[10:11]
	v_mov_b32_e32 v9, s10
	s_add_i32 s10, s2, 2
	v_mov_b32_e32 v6, s0
	s_mul_hi_u32 s0, s10, 0x10624dd3
	s_lshr_b32 s0, s0, 6
	s_mulk_i32 s0, 0x3e8
	s_sub_i32 s0, s10, s0
	v_lshl_add_u64 v[2:3], s[8:9], 4, v[16:17]
	v_mov_b32_e32 v7, s1
	v_mov_b32_e32 v8, 0
	s_lshl_b32 s8, s0, 8
	s_lshl_b32 s0, s0, 12
	s_mov_b32 s1, s9
	global_store_dwordx4 v[2:3], v[6:9], off nt
	v_lshl_add_u64 v[2:3], v[14:15], 0, s[0:1]
	s_mov_b32 s11, s9
	s_mov_b64 s[12:13], 0
.LBB1_16:                               ;   Parent Loop BB1_1 Depth=1
                                        ; =>  This Inner Loop Header: Depth=2
	global_load_dwordx4 v[10:13], v[2:3], off nt
	v_add_u32_e32 v8, 1, v8
	v_cmp_eq_u32_e32 vcc, s18, v8
	v_mov_b32_e32 v1, 0
	s_and_saveexec_b64 s[0:1], vcc
	s_cbranch_execz .LBB1_18
; %bb.17:                               ;   in Loop: Header=BB1_16 Depth=2
	s_waitcnt vmcnt(0)
	global_load_dword v1, v4, s[6:7] sc0 sc1
	s_waitcnt vmcnt(0)
	buffer_inv sc0 sc1
	v_mov_b32_e32 v8, 0
.LBB1_18:                               ;   in Loop: Header=BB1_16 Depth=2
	s_or_b64 exec, exec, s[0:1]
	v_cmp_eq_u32_e32 vcc, 0, v1
	s_mov_b64 s[0:1], -1
	s_and_saveexec_b64 s[16:17], vcc
	s_cbranch_execz .LBB1_20
; %bb.19:                               ;   in Loop: Header=BB1_16 Depth=2
	s_waitcnt vmcnt(0)
	v_cmp_eq_u32_e32 vcc, s10, v11
	v_cmp_eq_u32_e64 s[0:1], s10, v13
	s_and_b64 s[0:1], vcc, s[0:1]
	s_orn2_b64 s[0:1], s[0:1], exec
.LBB1_20:                               ;   in Loop: Header=BB1_16 Depth=2
	s_or_b64 exec, exec, s[16:17]
	s_and_b64 s[0:1], exec, s[0:1]
	s_or_b64 s[14:15], s[0:1], s[14:15]
	s_andn2_b64 exec, exec, s[14:15]
	s_cbranch_execnz .LBB1_16
; %bb.21:                               ;   in Loop: Header=BB1_16 Depth=2
	s_or_b64 exec, exec, s[14:15]
	s_waitcnt vmcnt(0)
	v_mov_b32_e32 v11, v12
	v_cmp_eq_u64_e32 vcc, s[10:11], v[10:11]
	s_or_b64 s[12:13], vcc, s[12:13]
	s_mov_b64 s[14:15], 0
	v_mov_b32_e32 v8, 0
	s_andn2_b64 exec, exec, s[12:13]
	s_cbranch_execnz .LBB1_16
; %bb.22:                               ;   in Loop: Header=BB1_1 Depth=1
	s_or_b64 exec, exec, s[12:13]
	s_mov_b32 s0, s9
	s_mov_b32 s1, s10
	s_or_b64 s[0:1], s[0:1], s[10:11]
	v_mov_b32_e32 v9, s10
	s_add_i32 s10, s2, 3
	v_mov_b32_e32 v6, s0
	s_mul_hi_u32 s0, s10, 0x10624dd3
	s_lshr_b32 s0, s0, 6
	s_mulk_i32 s0, 0x3e8
	s_sub_i32 s0, s10, s0
	v_lshl_add_u64 v[2:3], s[8:9], 4, v[16:17]
	v_mov_b32_e32 v7, s1
	v_mov_b32_e32 v8, 0
	s_lshl_b32 s8, s0, 8
	s_lshl_b32 s0, s0, 12
	s_mov_b32 s1, s9
	global_store_dwordx4 v[2:3], v[6:9], off nt
	v_lshl_add_u64 v[2:3], v[14:15], 0, s[0:1]
	s_mov_b32 s11, s9
	s_mov_b64 s[12:13], 0
.LBB1_23:                               ;   Parent Loop BB1_1 Depth=1
                                        ; =>  This Inner Loop Header: Depth=2
	global_load_dwordx4 v[10:13], v[2:3], off nt
	v_add_u32_e32 v8, 1, v8
	v_cmp_eq_u32_e32 vcc, s18, v8
	v_mov_b32_e32 v1, 0
	s_and_saveexec_b64 s[0:1], vcc
	s_cbranch_execz .LBB1_25
; %bb.24:                               ;   in Loop: Header=BB1_23 Depth=2
	s_waitcnt vmcnt(0)
	global_load_dword v1, v4, s[6:7] sc0 sc1
	s_waitcnt vmcnt(0)
	buffer_inv sc0 sc1
	v_mov_b32_e32 v8, 0
.LBB1_25:                               ;   in Loop: Header=BB1_23 Depth=2
	s_or_b64 exec, exec, s[0:1]
	v_cmp_eq_u32_e32 vcc, 0, v1
	s_mov_b64 s[0:1], -1
	s_and_saveexec_b64 s[16:17], vcc
	s_cbranch_execz .LBB1_27
; %bb.26:                               ;   in Loop: Header=BB1_23 Depth=2
	s_waitcnt vmcnt(0)
	v_cmp_eq_u32_e32 vcc, s10, v11
	v_cmp_eq_u32_e64 s[0:1], s10, v13
	s_and_b64 s[0:1], vcc, s[0:1]
	s_orn2_b64 s[0:1], s[0:1], exec
.LBB1_27:                               ;   in Loop: Header=BB1_23 Depth=2
	s_or_b64 exec, exec, s[16:17]
	s_and_b64 s[0:1], exec, s[0:1]
	s_or_b64 s[14:15], s[0:1], s[14:15]
	s_andn2_b64 exec, exec, s[14:15]
	s_cbranch_execnz .LBB1_23
; %bb.28:                               ;   in Loop: Header=BB1_23 Depth=2
	s_or_b64 exec, exec, s[14:15]
	s_waitcnt vmcnt(0)
	v_mov_b32_e32 v11, v12
	v_cmp_eq_u64_e32 vcc, s[10:11], v[10:11]
	s_or_b64 s[12:13], vcc, s[12:13]
	s_mov_b64 s[14:15], 0
	v_mov_b32_e32 v8, 0
	s_andn2_b64 exec, exec, s[12:13]
	s_cbranch_execnz .LBB1_23
	;; [unrolled: 64-line block ×12, first 2 shown]
; %bb.99:                               ;   in Loop: Header=BB1_1 Depth=1
	s_or_b64 exec, exec, s[12:13]
	s_mov_b32 s0, s9
	s_mov_b32 s1, s10
	s_or_b64 s[0:1], s[0:1], s[10:11]
	v_mov_b32_e32 v9, s10
	s_add_i32 s10, s2, 14
	v_mov_b32_e32 v6, s0
	s_mul_hi_u32 s0, s10, 0x10624dd3
	s_lshr_b32 s0, s0, 6
	s_mulk_i32 s0, 0x3e8
	s_sub_i32 s0, s10, s0
	v_lshl_add_u64 v[2:3], s[8:9], 4, v[16:17]
	v_mov_b32_e32 v7, s1
	v_mov_b32_e32 v8, 0
	s_lshl_b32 s8, s0, 8
	s_lshl_b32 s0, s0, 12
	s_mov_b32 s1, s9
	global_store_dwordx4 v[2:3], v[6:9], off nt
	v_lshl_add_u64 v[2:3], v[14:15], 0, s[0:1]
	s_mov_b32 s11, s9
	s_mov_b64 s[12:13], 0
.LBB1_100:                              ;   Parent Loop BB1_1 Depth=1
                                        ; =>  This Inner Loop Header: Depth=2
	global_load_dwordx4 v[10:13], v[2:3], off nt
	v_add_u32_e32 v8, 1, v8
	v_cmp_eq_u32_e32 vcc, s18, v8
	v_mov_b32_e32 v1, 0
	s_and_saveexec_b64 s[0:1], vcc
	s_cbranch_execz .LBB1_102
; %bb.101:                              ;   in Loop: Header=BB1_100 Depth=2
	s_waitcnt vmcnt(0)
	global_load_dword v1, v4, s[6:7] sc0 sc1
	s_waitcnt vmcnt(0)
	buffer_inv sc0 sc1
	v_mov_b32_e32 v8, 0
.LBB1_102:                              ;   in Loop: Header=BB1_100 Depth=2
	s_or_b64 exec, exec, s[0:1]
	v_cmp_eq_u32_e32 vcc, 0, v1
	s_mov_b64 s[0:1], -1
	s_and_saveexec_b64 s[16:17], vcc
	s_cbranch_execz .LBB1_104
; %bb.103:                              ;   in Loop: Header=BB1_100 Depth=2
	s_waitcnt vmcnt(0)
	v_cmp_eq_u32_e32 vcc, s10, v11
	v_cmp_eq_u32_e64 s[0:1], s10, v13
	s_and_b64 s[0:1], vcc, s[0:1]
	s_orn2_b64 s[0:1], s[0:1], exec
.LBB1_104:                              ;   in Loop: Header=BB1_100 Depth=2
	s_or_b64 exec, exec, s[16:17]
	s_and_b64 s[0:1], exec, s[0:1]
	s_or_b64 s[14:15], s[0:1], s[14:15]
	s_andn2_b64 exec, exec, s[14:15]
	s_cbranch_execnz .LBB1_100
; %bb.105:                              ;   in Loop: Header=BB1_100 Depth=2
	s_or_b64 exec, exec, s[14:15]
	s_waitcnt vmcnt(0)
	v_mov_b32_e32 v11, v12
	v_cmp_eq_u64_e32 vcc, s[10:11], v[10:11]
	s_or_b64 s[12:13], vcc, s[12:13]
	s_mov_b64 s[14:15], 0
	v_mov_b32_e32 v8, 0
	s_andn2_b64 exec, exec, s[12:13]
	s_cbranch_execnz .LBB1_100
; %bb.106:                              ;   in Loop: Header=BB1_1 Depth=1
	s_or_b64 exec, exec, s[12:13]
	s_mov_b32 s0, s9
	s_mov_b32 s1, s10
	s_or_b64 s[0:1], s[0:1], s[10:11]
	v_mov_b32_e32 v9, s10
	s_add_i32 s10, s2, 15
	v_mov_b32_e32 v6, s0
	s_mul_hi_u32 s0, s10, 0x10624dd3
	s_lshr_b32 s0, s0, 6
	s_mulk_i32 s0, 0x3e8
	s_sub_i32 s0, s10, s0
	v_lshl_add_u64 v[2:3], s[8:9], 4, v[16:17]
	v_mov_b32_e32 v7, s1
	v_mov_b32_e32 v8, 0
	s_lshl_b32 s8, s0, 8
	s_lshl_b32 s0, s0, 12
	s_mov_b32 s1, s9
	global_store_dwordx4 v[2:3], v[6:9], off nt
	v_lshl_add_u64 v[2:3], v[14:15], 0, s[0:1]
	s_mov_b32 s11, s9
	s_mov_b64 s[12:13], 0
.LBB1_107:                              ;   Parent Loop BB1_1 Depth=1
                                        ; =>  This Inner Loop Header: Depth=2
	global_load_dwordx4 v[10:13], v[2:3], off nt
	v_add_u32_e32 v8, 1, v8
	v_cmp_eq_u32_e32 vcc, s18, v8
	v_mov_b32_e32 v1, 0
	s_and_saveexec_b64 s[0:1], vcc
	s_cbranch_execz .LBB1_109
; %bb.108:                              ;   in Loop: Header=BB1_107 Depth=2
	s_waitcnt vmcnt(0)
	global_load_dword v1, v4, s[6:7] sc0 sc1
	s_waitcnt vmcnt(0)
	buffer_inv sc0 sc1
	v_mov_b32_e32 v8, 0
.LBB1_109:                              ;   in Loop: Header=BB1_107 Depth=2
	s_or_b64 exec, exec, s[0:1]
	v_cmp_eq_u32_e32 vcc, 0, v1
	s_mov_b64 s[0:1], -1
	s_and_saveexec_b64 s[16:17], vcc
	s_cbranch_execz .LBB1_111
; %bb.110:                              ;   in Loop: Header=BB1_107 Depth=2
	s_waitcnt vmcnt(0)
	v_cmp_eq_u32_e32 vcc, s10, v11
	v_cmp_eq_u32_e64 s[0:1], s10, v13
	s_and_b64 s[0:1], vcc, s[0:1]
	s_orn2_b64 s[0:1], s[0:1], exec
.LBB1_111:                              ;   in Loop: Header=BB1_107 Depth=2
	s_or_b64 exec, exec, s[16:17]
	s_and_b64 s[0:1], exec, s[0:1]
	s_or_b64 s[14:15], s[0:1], s[14:15]
	s_andn2_b64 exec, exec, s[14:15]
	s_cbranch_execnz .LBB1_107
; %bb.112:                              ;   in Loop: Header=BB1_107 Depth=2
	s_or_b64 exec, exec, s[14:15]
	s_waitcnt vmcnt(0)
	v_mov_b32_e32 v11, v12
	v_cmp_eq_u64_e32 vcc, s[10:11], v[10:11]
	s_or_b64 s[12:13], vcc, s[12:13]
	s_mov_b64 s[14:15], 0
	v_mov_b32_e32 v8, 0
	s_andn2_b64 exec, exec, s[12:13]
	s_cbranch_execnz .LBB1_107
; %bb.113:                              ;   in Loop: Header=BB1_1 Depth=1
	;; [unrolled: 64-line block ×128, first 2 shown]
	s_or_b64 exec, exec, s[12:13]
	s_mov_b32 s0, s9
	s_mov_b32 s1, s10
	s_or_b64 s[0:1], s[0:1], s[10:11]
	v_mov_b32_e32 v9, s10
	s_add_i32 s10, s2, 0x8e
	v_mov_b32_e32 v6, s0
	s_mul_hi_u32 s0, s10, 0x10624dd3
	s_lshr_b32 s0, s0, 6
	s_mulk_i32 s0, 0x3e8
	s_sub_i32 s0, s10, s0
	v_lshl_add_u64 v[2:3], s[8:9], 4, v[16:17]
	v_mov_b32_e32 v7, s1
	v_mov_b32_e32 v8, 0
	s_lshl_b32 s8, s0, 8
	s_lshl_b32 s0, s0, 12
	s_mov_b32 s1, s9
	global_store_dwordx4 v[2:3], v[6:9], off nt
	v_lshl_add_u64 v[2:3], v[14:15], 0, s[0:1]
	s_mov_b32 s11, s9
	s_mov_b64 s[12:13], 0
.LBB1_996:                              ;   Parent Loop BB1_1 Depth=1
                                        ; =>  This Inner Loop Header: Depth=2
	global_load_dwordx4 v[10:13], v[2:3], off nt
	v_add_u32_e32 v8, 1, v8
	v_cmp_eq_u32_e32 vcc, s18, v8
	v_mov_b32_e32 v1, 0
	s_and_saveexec_b64 s[0:1], vcc
	s_cbranch_execz .LBB1_998
; %bb.997:                              ;   in Loop: Header=BB1_996 Depth=2
	s_waitcnt vmcnt(0)
	global_load_dword v1, v4, s[6:7] sc0 sc1
	s_waitcnt vmcnt(0)
	buffer_inv sc0 sc1
	v_mov_b32_e32 v8, 0
.LBB1_998:                              ;   in Loop: Header=BB1_996 Depth=2
	s_or_b64 exec, exec, s[0:1]
	v_cmp_eq_u32_e32 vcc, 0, v1
	s_mov_b64 s[0:1], -1
	s_and_saveexec_b64 s[16:17], vcc
	s_cbranch_execz .LBB1_1000
; %bb.999:                              ;   in Loop: Header=BB1_996 Depth=2
	s_waitcnt vmcnt(0)
	v_cmp_eq_u32_e32 vcc, s10, v11
	v_cmp_eq_u32_e64 s[0:1], s10, v13
	s_and_b64 s[0:1], vcc, s[0:1]
	s_orn2_b64 s[0:1], s[0:1], exec
.LBB1_1000:                             ;   in Loop: Header=BB1_996 Depth=2
	s_or_b64 exec, exec, s[16:17]
	s_and_b64 s[0:1], exec, s[0:1]
	s_or_b64 s[14:15], s[0:1], s[14:15]
	s_andn2_b64 exec, exec, s[14:15]
	s_cbranch_execnz .LBB1_996
; %bb.1001:                             ;   in Loop: Header=BB1_996 Depth=2
	s_or_b64 exec, exec, s[14:15]
	s_waitcnt vmcnt(0)
	v_mov_b32_e32 v11, v12
	v_cmp_eq_u64_e32 vcc, s[10:11], v[10:11]
	s_or_b64 s[12:13], vcc, s[12:13]
	s_mov_b64 s[14:15], 0
	v_mov_b32_e32 v8, 0
	s_andn2_b64 exec, exec, s[12:13]
	s_cbranch_execnz .LBB1_996
; %bb.1002:                             ;   in Loop: Header=BB1_1 Depth=1
	s_or_b64 exec, exec, s[12:13]
	s_mov_b32 s0, s9
	s_mov_b32 s1, s10
	s_or_b64 s[0:1], s[0:1], s[10:11]
	v_mov_b32_e32 v9, s10
	s_add_i32 s10, s2, 0x8f
	v_mov_b32_e32 v6, s0
	s_mul_hi_u32 s0, s10, 0x10624dd3
	s_lshr_b32 s0, s0, 6
	s_mulk_i32 s0, 0x3e8
	s_sub_i32 s0, s10, s0
	v_lshl_add_u64 v[2:3], s[8:9], 4, v[16:17]
	v_mov_b32_e32 v7, s1
	v_mov_b32_e32 v8, 0
	s_lshl_b32 s8, s0, 8
	s_lshl_b32 s0, s0, 12
	s_mov_b32 s1, s9
	global_store_dwordx4 v[2:3], v[6:9], off nt
	v_lshl_add_u64 v[2:3], v[14:15], 0, s[0:1]
	s_mov_b32 s11, s9
	s_mov_b64 s[12:13], 0
.LBB1_1003:                             ;   Parent Loop BB1_1 Depth=1
                                        ; =>  This Inner Loop Header: Depth=2
	global_load_dwordx4 v[10:13], v[2:3], off nt
	v_add_u32_e32 v8, 1, v8
	v_cmp_eq_u32_e32 vcc, s18, v8
	v_mov_b32_e32 v1, 0
	s_and_saveexec_b64 s[0:1], vcc
	s_cbranch_execz .LBB1_1005
; %bb.1004:                             ;   in Loop: Header=BB1_1003 Depth=2
	s_waitcnt vmcnt(0)
	global_load_dword v1, v4, s[6:7] sc0 sc1
	s_waitcnt vmcnt(0)
	buffer_inv sc0 sc1
	v_mov_b32_e32 v8, 0
.LBB1_1005:                             ;   in Loop: Header=BB1_1003 Depth=2
	s_or_b64 exec, exec, s[0:1]
	v_cmp_eq_u32_e32 vcc, 0, v1
	s_mov_b64 s[0:1], -1
	s_and_saveexec_b64 s[16:17], vcc
	s_cbranch_execz .LBB1_1007
; %bb.1006:                             ;   in Loop: Header=BB1_1003 Depth=2
	s_waitcnt vmcnt(0)
	v_cmp_eq_u32_e32 vcc, s10, v11
	v_cmp_eq_u32_e64 s[0:1], s10, v13
	s_and_b64 s[0:1], vcc, s[0:1]
	s_orn2_b64 s[0:1], s[0:1], exec
.LBB1_1007:                             ;   in Loop: Header=BB1_1003 Depth=2
	s_or_b64 exec, exec, s[16:17]
	s_and_b64 s[0:1], exec, s[0:1]
	s_or_b64 s[14:15], s[0:1], s[14:15]
	s_andn2_b64 exec, exec, s[14:15]
	s_cbranch_execnz .LBB1_1003
; %bb.1008:                             ;   in Loop: Header=BB1_1003 Depth=2
	s_or_b64 exec, exec, s[14:15]
	s_waitcnt vmcnt(0)
	v_mov_b32_e32 v11, v12
	v_cmp_eq_u64_e32 vcc, s[10:11], v[10:11]
	s_or_b64 s[12:13], vcc, s[12:13]
	s_mov_b64 s[14:15], 0
	v_mov_b32_e32 v8, 0
	s_andn2_b64 exec, exec, s[12:13]
	s_cbranch_execnz .LBB1_1003
; %bb.1009:                             ;   in Loop: Header=BB1_1 Depth=1
	s_or_b64 exec, exec, s[12:13]
	s_mov_b32 s0, s9
	s_mov_b32 s1, s10
	s_or_b64 s[0:1], s[0:1], s[10:11]
	v_mov_b32_e32 v9, s10
	s_add_i32 s10, s2, 0x90
	v_mov_b32_e32 v6, s0
	s_mul_hi_u32 s0, s10, 0x10624dd3
	s_lshr_b32 s0, s0, 6
	s_mulk_i32 s0, 0x3e8
	s_sub_i32 s0, s10, s0
	v_lshl_add_u64 v[2:3], s[8:9], 4, v[16:17]
	v_mov_b32_e32 v7, s1
	v_mov_b32_e32 v8, 0
	s_lshl_b32 s8, s0, 8
	s_lshl_b32 s0, s0, 12
	s_mov_b32 s1, s9
	global_store_dwordx4 v[2:3], v[6:9], off nt
	v_lshl_add_u64 v[2:3], v[14:15], 0, s[0:1]
	s_mov_b32 s11, s9
	s_mov_b64 s[12:13], 0
.LBB1_1010:                             ;   Parent Loop BB1_1 Depth=1
                                        ; =>  This Inner Loop Header: Depth=2
	global_load_dwordx4 v[10:13], v[2:3], off nt
	v_add_u32_e32 v8, 1, v8
	v_cmp_eq_u32_e32 vcc, s18, v8
	v_mov_b32_e32 v1, 0
	s_and_saveexec_b64 s[0:1], vcc
	s_cbranch_execz .LBB1_1012
; %bb.1011:                             ;   in Loop: Header=BB1_1010 Depth=2
	s_waitcnt vmcnt(0)
	global_load_dword v1, v4, s[6:7] sc0 sc1
	s_waitcnt vmcnt(0)
	buffer_inv sc0 sc1
	v_mov_b32_e32 v8, 0
.LBB1_1012:                             ;   in Loop: Header=BB1_1010 Depth=2
	s_or_b64 exec, exec, s[0:1]
	v_cmp_eq_u32_e32 vcc, 0, v1
	s_mov_b64 s[0:1], -1
	s_and_saveexec_b64 s[16:17], vcc
	s_cbranch_execz .LBB1_1014
; %bb.1013:                             ;   in Loop: Header=BB1_1010 Depth=2
	s_waitcnt vmcnt(0)
	v_cmp_eq_u32_e32 vcc, s10, v11
	v_cmp_eq_u32_e64 s[0:1], s10, v13
	s_and_b64 s[0:1], vcc, s[0:1]
	s_orn2_b64 s[0:1], s[0:1], exec
.LBB1_1014:                             ;   in Loop: Header=BB1_1010 Depth=2
	s_or_b64 exec, exec, s[16:17]
	s_and_b64 s[0:1], exec, s[0:1]
	s_or_b64 s[14:15], s[0:1], s[14:15]
	s_andn2_b64 exec, exec, s[14:15]
	s_cbranch_execnz .LBB1_1010
; %bb.1015:                             ;   in Loop: Header=BB1_1010 Depth=2
	s_or_b64 exec, exec, s[14:15]
	s_waitcnt vmcnt(0)
	v_mov_b32_e32 v11, v12
	v_cmp_eq_u64_e32 vcc, s[10:11], v[10:11]
	s_or_b64 s[12:13], vcc, s[12:13]
	s_mov_b64 s[14:15], 0
	v_mov_b32_e32 v8, 0
	s_andn2_b64 exec, exec, s[12:13]
	s_cbranch_execnz .LBB1_1010
	;; [unrolled: 64-line block ×107, first 2 shown]
; %bb.1751:                             ;   in Loop: Header=BB1_1 Depth=1
	s_or_b64 exec, exec, s[12:13]
	s_mov_b32 s0, s9
	s_mov_b32 s1, s10
	s_or_b64 s[0:1], s[0:1], s[10:11]
	s_addk_i32 s2, 0xfa
	v_lshl_add_u64 v[6:7], s[8:9], 4, v[16:17]
	v_mov_b32_e32 v2, s0
	v_mov_b32_e32 v3, s1
	;; [unrolled: 1-line block ×3, first 2 shown]
	s_cmpk_eq_i32 s2, 0x7d1
	global_store_dwordx4 v[6:7], v[2:5], off nt
	s_cbranch_scc0 .LBB1_1
; %bb.1752:
	s_mov_b32 s11, 0
	v_cmp_eq_u32_e32 vcc, 0, v0
                                        ; implicit-def: $sgpr8_sgpr9
	s_and_saveexec_b64 s[0:1], vcc
	s_cbranch_execz .LBB1_1754
; %bb.1753:
	s_memrealtime s[8:9]
.LBB1_1754:
	s_or_b64 exec, exec, s[0:1]
	s_movk_i32 s12, 0x7d1
	s_mov_b32 s22, 0xf4240
	v_mov_b32_e32 v2, 0
.LBB1_1755:                             ; =>This Loop Header: Depth=1
                                        ;     Child Loop BB1_1756 Depth 2
                                        ;     Child Loop BB1_1763 Depth 2
	;; [unrolled: 1-line block ×250, first 2 shown]
	s_mul_hi_u32 s0, s12, 0x10624dd3
	s_lshr_b32 s0, s0, 6
	s_mulk_i32 s0, 0x3e8
	s_sub_i32 s0, s12, s0
	s_lshl_b32 s10, s0, 8
	s_lshl_b32 s0, s0, 12
	s_mov_b32 s1, s11
	v_lshl_add_u64 v[0:1], v[14:15], 0, s[0:1]
	s_mov_b32 s13, s11
	s_mov_b64 s[14:15], 0
	s_mov_b64 s[16:17], 0
	v_mov_b32_e32 v3, 0
.LBB1_1756:                             ;   Parent Loop BB1_1755 Depth=1
                                        ; =>  This Inner Loop Header: Depth=2
	global_load_dwordx4 v[4:7], v[0:1], off nt
	v_add_u32_e32 v3, 1, v3
	v_cmp_eq_u32_e64 s[0:1], s22, v3
	v_mov_b32_e32 v8, 0
	s_and_saveexec_b64 s[2:3], s[0:1]
	s_cbranch_execz .LBB1_1758
; %bb.1757:                             ;   in Loop: Header=BB1_1756 Depth=2
	s_waitcnt vmcnt(0) lgkmcnt(0)
	global_load_dword v8, v2, s[6:7] sc0 sc1
	s_waitcnt vmcnt(0)
	buffer_inv sc0 sc1
	v_mov_b32_e32 v3, 0
.LBB1_1758:                             ;   in Loop: Header=BB1_1756 Depth=2
	s_or_b64 exec, exec, s[2:3]
	v_cmp_eq_u32_e64 s[0:1], 0, v8
	s_mov_b64 s[2:3], -1
	s_and_saveexec_b64 s[18:19], s[0:1]
	s_cbranch_execz .LBB1_1760
; %bb.1759:                             ;   in Loop: Header=BB1_1756 Depth=2
	s_waitcnt vmcnt(0)
	v_cmp_eq_u32_e64 s[0:1], s12, v5
	v_cmp_eq_u32_e64 s[2:3], s12, v7
	s_and_b64 s[0:1], s[0:1], s[2:3]
	s_orn2_b64 s[2:3], s[0:1], exec
.LBB1_1760:                             ;   in Loop: Header=BB1_1756 Depth=2
	s_or_b64 exec, exec, s[18:19]
	s_and_b64 s[0:1], exec, s[2:3]
	s_or_b64 s[16:17], s[0:1], s[16:17]
	s_andn2_b64 exec, exec, s[16:17]
	s_cbranch_execnz .LBB1_1756
; %bb.1761:                             ;   in Loop: Header=BB1_1756 Depth=2
	s_or_b64 exec, exec, s[16:17]
	s_waitcnt vmcnt(0)
	v_mov_b32_e32 v5, v6
	v_cmp_eq_u64_e64 s[0:1], s[12:13], v[4:5]
	v_mov_b32_e32 v3, 0
	s_or_b64 s[14:15], s[0:1], s[14:15]
	s_mov_b64 s[16:17], 0
	s_andn2_b64 exec, exec, s[14:15]
	s_cbranch_execnz .LBB1_1756
; %bb.1762:                             ;   in Loop: Header=BB1_1755 Depth=1
	s_or_b64 exec, exec, s[14:15]
	s_mov_b32 s0, s11
	s_mov_b32 s1, s12
	s_or_b64 s[0:1], s[0:1], s[12:13]
	s_add_i32 s14, s12, 1
	v_mov_b32_e32 v4, s0
	s_mul_hi_u32 s0, s14, 0x10624dd3
	s_lshr_b32 s0, s0, 6
	s_mulk_i32 s0, 0x3e8
	s_sub_i32 s0, s14, s0
	v_lshl_add_u64 v[0:1], s[10:11], 4, v[16:17]
	v_mov_b32_e32 v5, s1
	v_mov_b32_e32 v6, 0
	;; [unrolled: 1-line block ×3, first 2 shown]
	s_lshl_b32 s10, s0, 8
	s_lshl_b32 s0, s0, 12
	s_mov_b32 s1, s11
	global_store_dwordx4 v[0:1], v[4:7], off nt
	v_lshl_add_u64 v[0:1], v[14:15], 0, s[0:1]
	s_mov_b32 s15, s11
	s_mov_b64 s[18:19], 0
.LBB1_1763:                             ;   Parent Loop BB1_1755 Depth=1
                                        ; =>  This Inner Loop Header: Depth=2
	global_load_dwordx4 v[8:11], v[0:1], off nt
	v_add_u32_e32 v6, 1, v6
	v_cmp_eq_u32_e64 s[0:1], s22, v6
	v_mov_b32_e32 v3, 0
	s_and_saveexec_b64 s[2:3], s[0:1]
	s_cbranch_execz .LBB1_1765
; %bb.1764:                             ;   in Loop: Header=BB1_1763 Depth=2
	s_waitcnt vmcnt(0) lgkmcnt(0)
	global_load_dword v3, v2, s[6:7] sc0 sc1
	s_waitcnt vmcnt(0)
	buffer_inv sc0 sc1
	v_mov_b32_e32 v6, 0
.LBB1_1765:                             ;   in Loop: Header=BB1_1763 Depth=2
	s_or_b64 exec, exec, s[2:3]
	v_cmp_eq_u32_e64 s[0:1], 0, v3
	s_mov_b64 s[2:3], -1
	s_and_saveexec_b64 s[20:21], s[0:1]
	s_cbranch_execz .LBB1_1767
; %bb.1766:                             ;   in Loop: Header=BB1_1763 Depth=2
	s_waitcnt vmcnt(0)
	v_cmp_eq_u32_e64 s[0:1], s14, v9
	v_cmp_eq_u32_e64 s[2:3], s14, v11
	s_and_b64 s[0:1], s[0:1], s[2:3]
	s_orn2_b64 s[2:3], s[0:1], exec
.LBB1_1767:                             ;   in Loop: Header=BB1_1763 Depth=2
	s_or_b64 exec, exec, s[20:21]
	s_and_b64 s[0:1], exec, s[2:3]
	s_or_b64 s[18:19], s[0:1], s[18:19]
	s_andn2_b64 exec, exec, s[18:19]
	s_cbranch_execnz .LBB1_1763
; %bb.1768:                             ;   in Loop: Header=BB1_1763 Depth=2
	s_or_b64 exec, exec, s[18:19]
	s_waitcnt vmcnt(0)
	v_mov_b32_e32 v9, v10
	v_cmp_eq_u64_e64 s[0:1], s[14:15], v[8:9]
	s_or_b64 s[16:17], s[0:1], s[16:17]
	s_mov_b64 s[18:19], 0
	v_mov_b32_e32 v6, 0
	s_andn2_b64 exec, exec, s[16:17]
	s_cbranch_execnz .LBB1_1763
; %bb.1769:                             ;   in Loop: Header=BB1_1755 Depth=1
	s_or_b64 exec, exec, s[16:17]
	s_mov_b32 s0, s11
	s_mov_b32 s1, s14
	s_or_b64 s[0:1], s[0:1], s[14:15]
	v_mov_b32_e32 v7, s14
	s_add_i32 s14, s12, 2
	v_mov_b32_e32 v4, s0
	s_mul_hi_u32 s0, s14, 0x10624dd3
	s_lshr_b32 s0, s0, 6
	s_mulk_i32 s0, 0x3e8
	s_sub_i32 s0, s14, s0
	v_lshl_add_u64 v[0:1], s[10:11], 4, v[16:17]
	v_mov_b32_e32 v5, s1
	v_mov_b32_e32 v6, 0
	s_lshl_b32 s10, s0, 8
	s_lshl_b32 s0, s0, 12
	s_mov_b32 s1, s11
	global_store_dwordx4 v[0:1], v[4:7], off nt
	v_lshl_add_u64 v[0:1], v[14:15], 0, s[0:1]
	s_mov_b32 s15, s11
	s_mov_b64 s[16:17], 0
.LBB1_1770:                             ;   Parent Loop BB1_1755 Depth=1
                                        ; =>  This Inner Loop Header: Depth=2
	global_load_dwordx4 v[8:11], v[0:1], off nt
	v_add_u32_e32 v6, 1, v6
	v_cmp_eq_u32_e64 s[0:1], s22, v6
	v_mov_b32_e32 v3, 0
	s_and_saveexec_b64 s[2:3], s[0:1]
	s_cbranch_execz .LBB1_1772
; %bb.1771:                             ;   in Loop: Header=BB1_1770 Depth=2
	s_waitcnt vmcnt(0) lgkmcnt(0)
	global_load_dword v3, v2, s[6:7] sc0 sc1
	s_waitcnt vmcnt(0)
	buffer_inv sc0 sc1
	v_mov_b32_e32 v6, 0
.LBB1_1772:                             ;   in Loop: Header=BB1_1770 Depth=2
	s_or_b64 exec, exec, s[2:3]
	v_cmp_eq_u32_e64 s[0:1], 0, v3
	s_mov_b64 s[2:3], -1
	s_and_saveexec_b64 s[20:21], s[0:1]
	s_cbranch_execz .LBB1_1774
; %bb.1773:                             ;   in Loop: Header=BB1_1770 Depth=2
	s_waitcnt vmcnt(0)
	v_cmp_eq_u32_e64 s[0:1], s14, v9
	v_cmp_eq_u32_e64 s[2:3], s14, v11
	s_and_b64 s[0:1], s[0:1], s[2:3]
	s_orn2_b64 s[2:3], s[0:1], exec
.LBB1_1774:                             ;   in Loop: Header=BB1_1770 Depth=2
	s_or_b64 exec, exec, s[20:21]
	s_and_b64 s[0:1], exec, s[2:3]
	s_or_b64 s[18:19], s[0:1], s[18:19]
	s_andn2_b64 exec, exec, s[18:19]
	s_cbranch_execnz .LBB1_1770
; %bb.1775:                             ;   in Loop: Header=BB1_1770 Depth=2
	s_or_b64 exec, exec, s[18:19]
	s_waitcnt vmcnt(0)
	v_mov_b32_e32 v9, v10
	v_cmp_eq_u64_e64 s[0:1], s[14:15], v[8:9]
	s_or_b64 s[16:17], s[0:1], s[16:17]
	s_mov_b64 s[18:19], 0
	v_mov_b32_e32 v6, 0
	s_andn2_b64 exec, exec, s[16:17]
	s_cbranch_execnz .LBB1_1770
; %bb.1776:                             ;   in Loop: Header=BB1_1755 Depth=1
	s_or_b64 exec, exec, s[16:17]
	s_mov_b32 s0, s11
	s_mov_b32 s1, s14
	s_or_b64 s[0:1], s[0:1], s[14:15]
	v_mov_b32_e32 v7, s14
	s_add_i32 s14, s12, 3
	v_mov_b32_e32 v4, s0
	s_mul_hi_u32 s0, s14, 0x10624dd3
	s_lshr_b32 s0, s0, 6
	s_mulk_i32 s0, 0x3e8
	s_sub_i32 s0, s14, s0
	v_lshl_add_u64 v[0:1], s[10:11], 4, v[16:17]
	v_mov_b32_e32 v5, s1
	v_mov_b32_e32 v6, 0
	;; [unrolled: 64-line block ×248, first 2 shown]
	s_lshl_b32 s10, s0, 8
	s_lshl_b32 s0, s0, 12
	s_mov_b32 s1, s11
	global_store_dwordx4 v[0:1], v[4:7], off nt
	v_lshl_add_u64 v[0:1], v[14:15], 0, s[0:1]
	s_mov_b32 s15, s11
	s_mov_b64 s[16:17], 0
.LBB1_3499:                             ;   Parent Loop BB1_1755 Depth=1
                                        ; =>  This Inner Loop Header: Depth=2
	global_load_dwordx4 v[8:11], v[0:1], off nt
	v_add_u32_e32 v6, 1, v6
	v_cmp_eq_u32_e64 s[0:1], s22, v6
	v_mov_b32_e32 v3, 0
	s_and_saveexec_b64 s[2:3], s[0:1]
	s_cbranch_execz .LBB1_3501
; %bb.3500:                             ;   in Loop: Header=BB1_3499 Depth=2
	s_waitcnt vmcnt(0) lgkmcnt(0)
	global_load_dword v3, v2, s[6:7] sc0 sc1
	s_waitcnt vmcnt(0)
	buffer_inv sc0 sc1
	v_mov_b32_e32 v6, 0
.LBB1_3501:                             ;   in Loop: Header=BB1_3499 Depth=2
	s_or_b64 exec, exec, s[2:3]
	v_cmp_eq_u32_e64 s[0:1], 0, v3
	s_mov_b64 s[2:3], -1
	s_and_saveexec_b64 s[20:21], s[0:1]
	s_cbranch_execz .LBB1_3503
; %bb.3502:                             ;   in Loop: Header=BB1_3499 Depth=2
	s_waitcnt vmcnt(0)
	v_cmp_eq_u32_e64 s[0:1], s14, v9
	v_cmp_eq_u32_e64 s[2:3], s14, v11
	s_and_b64 s[0:1], s[0:1], s[2:3]
	s_orn2_b64 s[2:3], s[0:1], exec
.LBB1_3503:                             ;   in Loop: Header=BB1_3499 Depth=2
	s_or_b64 exec, exec, s[20:21]
	s_and_b64 s[0:1], exec, s[2:3]
	s_or_b64 s[18:19], s[0:1], s[18:19]
	s_andn2_b64 exec, exec, s[18:19]
	s_cbranch_execnz .LBB1_3499
; %bb.3504:                             ;   in Loop: Header=BB1_3499 Depth=2
	s_or_b64 exec, exec, s[18:19]
	s_waitcnt vmcnt(0)
	v_mov_b32_e32 v9, v10
	v_cmp_eq_u64_e64 s[0:1], s[14:15], v[8:9]
	s_or_b64 s[16:17], s[0:1], s[16:17]
	s_mov_b64 s[18:19], 0
	v_mov_b32_e32 v6, 0
	s_andn2_b64 exec, exec, s[16:17]
	s_cbranch_execnz .LBB1_3499
; %bb.3505:                             ;   in Loop: Header=BB1_1755 Depth=1
	s_or_b64 exec, exec, s[16:17]
	s_mov_b32 s0, s11
	s_mov_b32 s1, s14
	s_or_b64 s[0:1], s[0:1], s[14:15]
	s_addk_i32 s12, 0xfa
	v_lshl_add_u64 v[4:5], s[10:11], 4, v[16:17]
	v_mov_b32_e32 v0, s0
	v_mov_b32_e32 v1, s1
	v_mov_b32_e32 v3, s14
	s_cmpk_eq_i32 s12, 0x2ee1
	global_store_dwordx4 v[4:5], v[0:3], off nt
	s_cbranch_scc0 .LBB1_1755
; %bb.3506:
	s_waitcnt lgkmcnt(0)
	s_barrier
	s_waitcnt lgkmcnt(0)
                                        ; implicit-def: $sgpr0_sgpr1
	s_and_saveexec_b64 s[2:3], vcc
	s_cbranch_execnz .LBB1_3509
; %bb.3507:
	s_or_b64 exec, exec, s[2:3]
	s_and_saveexec_b64 s[2:3], vcc
	s_cbranch_execnz .LBB1_3510
.LBB1_3508:
	s_endpgm
.LBB1_3509:
	s_memrealtime s[0:1]
	s_or_b64 exec, exec, s[2:3]
	s_and_saveexec_b64 s[2:3], vcc
	s_cbranch_execz .LBB1_3508
.LBB1_3510:
	s_waitcnt lgkmcnt(0)
	s_sub_u32 s0, s0, s8
	s_subb_u32 s1, s1, s9
	v_mov_b32_e32 v2, 0
	v_mov_b64_e32 v[0:1], s[0:1]
	global_store_dwordx2 v2, v[0:1], s[4:5]
	s_endpgm
	.section	.rodata,"a",@progbits
	.p2align	6, 0x0
	.amdhsa_kernel _Z10PongKernelP10LLFifoLineS0_PmPj
		.amdhsa_group_segment_fixed_size 0
		.amdhsa_private_segment_fixed_size 0
		.amdhsa_kernarg_size 32
		.amdhsa_user_sgpr_count 2
		.amdhsa_user_sgpr_dispatch_ptr 0
		.amdhsa_user_sgpr_queue_ptr 0
		.amdhsa_user_sgpr_kernarg_segment_ptr 1
		.amdhsa_user_sgpr_dispatch_id 0
		.amdhsa_user_sgpr_kernarg_preload_length 0
		.amdhsa_user_sgpr_kernarg_preload_offset 0
		.amdhsa_user_sgpr_private_segment_size 0
		.amdhsa_uses_dynamic_stack 0
		.amdhsa_enable_private_segment 0
		.amdhsa_system_sgpr_workgroup_id_x 1
		.amdhsa_system_sgpr_workgroup_id_y 0
		.amdhsa_system_sgpr_workgroup_id_z 0
		.amdhsa_system_sgpr_workgroup_info 0
		.amdhsa_system_vgpr_workitem_id 0
		.amdhsa_next_free_vgpr 18
		.amdhsa_next_free_sgpr 23
		.amdhsa_accum_offset 20
		.amdhsa_reserve_vcc 1
		.amdhsa_float_round_mode_32 0
		.amdhsa_float_round_mode_16_64 0
		.amdhsa_float_denorm_mode_32 3
		.amdhsa_float_denorm_mode_16_64 3
		.amdhsa_dx10_clamp 1
		.amdhsa_ieee_mode 1
		.amdhsa_fp16_overflow 0
		.amdhsa_tg_split 0
		.amdhsa_exception_fp_ieee_invalid_op 0
		.amdhsa_exception_fp_denorm_src 0
		.amdhsa_exception_fp_ieee_div_zero 0
		.amdhsa_exception_fp_ieee_overflow 0
		.amdhsa_exception_fp_ieee_underflow 0
		.amdhsa_exception_fp_ieee_inexact 0
		.amdhsa_exception_int_div_zero 0
	.end_amdhsa_kernel
	.text
.Lfunc_end1:
	.size	_Z10PongKernelP10LLFifoLineS0_PmPj, .Lfunc_end1-_Z10PongKernelP10LLFifoLineS0_PmPj
                                        ; -- End function
	.section	.AMDGPU.csdata,"",@progbits
; Kernel info:
; codeLenInByte = 133692
; NumSgprs: 29
; NumVgprs: 18
; NumAgprs: 0
; TotalNumVgprs: 18
; ScratchSize: 0
; MemoryBound: 0
; FloatMode: 240
; IeeeMode: 1
; LDSByteSize: 0 bytes/workgroup (compile time only)
; SGPRBlocks: 3
; VGPRBlocks: 2
; NumSGPRsForWavesPerEU: 29
; NumVGPRsForWavesPerEU: 18
; AccumOffset: 20
; Occupancy: 8
; WaveLimiterHint : 0
; COMPUTE_PGM_RSRC2:SCRATCH_EN: 0
; COMPUTE_PGM_RSRC2:USER_SGPR: 2
; COMPUTE_PGM_RSRC2:TRAP_HANDLER: 0
; COMPUTE_PGM_RSRC2:TGID_X_EN: 1
; COMPUTE_PGM_RSRC2:TGID_Y_EN: 0
; COMPUTE_PGM_RSRC2:TGID_Z_EN: 0
; COMPUTE_PGM_RSRC2:TIDIG_COMP_CNT: 0
; COMPUTE_PGM_RSRC3_GFX90A:ACCUM_OFFSET: 4
; COMPUTE_PGM_RSRC3_GFX90A:TG_SPLIT: 0
	.text
	.p2alignl 6, 3212836864
	.fill 256, 4, 3212836864
	.type	__hip_cuid_a37a3205bc575efd,@object ; @__hip_cuid_a37a3205bc575efd
	.section	.bss,"aw",@nobits
	.globl	__hip_cuid_a37a3205bc575efd
__hip_cuid_a37a3205bc575efd:
	.byte	0                               ; 0x0
	.size	__hip_cuid_a37a3205bc575efd, 1

	.ident	"AMD clang version 19.0.0git (https://github.com/RadeonOpenCompute/llvm-project roc-6.4.0 25133 c7fe45cf4b819c5991fe208aaa96edf142730f1d)"
	.section	".note.GNU-stack","",@progbits
	.addrsig
	.addrsig_sym __hip_cuid_a37a3205bc575efd
	.amdgpu_metadata
---
amdhsa.kernels:
  - .agpr_count:     0
    .args:
      - .address_space:  global
        .offset:         0
        .size:           8
        .value_kind:     global_buffer
      - .address_space:  global
        .offset:         8
        .size:           8
        .value_kind:     global_buffer
      - .address_space:  global
        .offset:         16
        .size:           8
        .value_kind:     global_buffer
      - .address_space:  global
        .offset:         24
        .size:           8
        .value_kind:     global_buffer
    .group_segment_fixed_size: 0
    .kernarg_segment_align: 8
    .kernarg_segment_size: 32
    .language:       OpenCL C
    .language_version:
      - 2
      - 0
    .max_flat_workgroup_size: 1024
    .name:           _Z10PingKernelP10LLFifoLineS0_PmPj
    .private_segment_fixed_size: 0
    .sgpr_count:     28
    .sgpr_spill_count: 0
    .symbol:         _Z10PingKernelP10LLFifoLineS0_PmPj.kd
    .uniform_work_group_size: 1
    .uses_dynamic_stack: false
    .vgpr_count:     16
    .vgpr_spill_count: 0
    .wavefront_size: 64
  - .agpr_count:     0
    .args:
      - .address_space:  global
        .offset:         0
        .size:           8
        .value_kind:     global_buffer
      - .address_space:  global
        .offset:         8
        .size:           8
        .value_kind:     global_buffer
      - .address_space:  global
        .offset:         16
        .size:           8
        .value_kind:     global_buffer
      - .address_space:  global
        .offset:         24
        .size:           8
        .value_kind:     global_buffer
    .group_segment_fixed_size: 0
    .kernarg_segment_align: 8
    .kernarg_segment_size: 32
    .language:       OpenCL C
    .language_version:
      - 2
      - 0
    .max_flat_workgroup_size: 1024
    .name:           _Z10PongKernelP10LLFifoLineS0_PmPj
    .private_segment_fixed_size: 0
    .sgpr_count:     29
    .sgpr_spill_count: 0
    .symbol:         _Z10PongKernelP10LLFifoLineS0_PmPj.kd
    .uniform_work_group_size: 1
    .uses_dynamic_stack: false
    .vgpr_count:     18
    .vgpr_spill_count: 0
    .wavefront_size: 64
amdhsa.target:   amdgcn-amd-amdhsa--gfx942
amdhsa.version:
  - 1
  - 2
...

	.end_amdgpu_metadata
